;; amdgpu-corpus repo=zjin-lcf/HeCBench kind=compiled arch=gfx1250 opt=O3
	.amdgcn_target "amdgcn-amd-amdhsa--gfx1250"
	.amdhsa_code_object_version 6
	.section	.text._Z19threads_copy_kernelIiLi1EEvPKT_PS0_m,"axG",@progbits,_Z19threads_copy_kernelIiLi1EEvPKT_PS0_m,comdat
	.protected	_Z19threads_copy_kernelIiLi1EEvPKT_PS0_m ; -- Begin function _Z19threads_copy_kernelIiLi1EEvPKT_PS0_m
	.globl	_Z19threads_copy_kernelIiLi1EEvPKT_PS0_m
	.p2align	8
	.type	_Z19threads_copy_kernelIiLi1EEvPKT_PS0_m,@function
_Z19threads_copy_kernelIiLi1EEvPKT_PS0_m: ; @_Z19threads_copy_kernelIiLi1EEvPKT_PS0_m
; %bb.0:
	s_clause 0x1
	s_load_b32 s4, s[0:1], 0x24
	s_load_b64 s[2:3], s[0:1], 0x10
	s_bfe_u32 s5, ttmp6, 0x4000c
	s_and_b32 s6, ttmp6, 15
	s_add_co_i32 s5, s5, 1
	s_getreg_b32 s7, hwreg(HW_REG_IB_STS2, 6, 4)
	s_mul_i32 s5, ttmp9, s5
	v_mov_b32_e32 v1, 0
	s_add_co_i32 s6, s6, s5
	s_wait_kmcnt 0x0
	s_and_b32 s4, s4, 0xffff
	s_cmp_eq_u32 s7, 0
	s_cselect_b32 s5, ttmp9, s6
	s_delay_alu instid0(SALU_CYCLE_1) | instskip(NEXT) | instid1(VALU_DEP_1)
	v_mad_nc_u64_u32 v[0:1], s4, s5, v[0:1]
	v_cmp_ne_u64_e32 vcc_lo, s[2:3], v[0:1]
	s_and_saveexec_b32 s2, vcc_lo
	s_cbranch_execz .LBB0_2
; %bb.1:
	s_load_b128 s[0:3], s[0:1], 0x0
	v_lshlrev_b64_e32 v[0:1], 2, v[0:1]
	s_wait_kmcnt 0x0
	s_delay_alu instid0(VALU_DEP_1)
	v_add_nc_u64_e32 v[2:3], s[0:1], v[0:1]
	v_add_nc_u64_e32 v[0:1], s[2:3], v[0:1]
	global_load_b32 v2, v[2:3], off
	s_wait_loadcnt 0x0
	global_store_b32 v[0:1], v2, off
.LBB0_2:
	s_endpgm
	.section	.rodata,"a",@progbits
	.p2align	6, 0x0
	.amdhsa_kernel _Z19threads_copy_kernelIiLi1EEvPKT_PS0_m
		.amdhsa_group_segment_fixed_size 0
		.amdhsa_private_segment_fixed_size 0
		.amdhsa_kernarg_size 280
		.amdhsa_user_sgpr_count 2
		.amdhsa_user_sgpr_dispatch_ptr 0
		.amdhsa_user_sgpr_queue_ptr 0
		.amdhsa_user_sgpr_kernarg_segment_ptr 1
		.amdhsa_user_sgpr_dispatch_id 0
		.amdhsa_user_sgpr_kernarg_preload_length 0
		.amdhsa_user_sgpr_kernarg_preload_offset 0
		.amdhsa_user_sgpr_private_segment_size 0
		.amdhsa_wavefront_size32 1
		.amdhsa_uses_dynamic_stack 0
		.amdhsa_enable_private_segment 0
		.amdhsa_system_sgpr_workgroup_id_x 1
		.amdhsa_system_sgpr_workgroup_id_y 0
		.amdhsa_system_sgpr_workgroup_id_z 0
		.amdhsa_system_sgpr_workgroup_info 0
		.amdhsa_system_vgpr_workitem_id 0
		.amdhsa_next_free_vgpr 4
		.amdhsa_next_free_sgpr 8
		.amdhsa_named_barrier_count 0
		.amdhsa_reserve_vcc 1
		.amdhsa_float_round_mode_32 0
		.amdhsa_float_round_mode_16_64 0
		.amdhsa_float_denorm_mode_32 3
		.amdhsa_float_denorm_mode_16_64 3
		.amdhsa_fp16_overflow 0
		.amdhsa_memory_ordered 1
		.amdhsa_forward_progress 1
		.amdhsa_inst_pref_size 2
		.amdhsa_round_robin_scheduling 0
		.amdhsa_exception_fp_ieee_invalid_op 0
		.amdhsa_exception_fp_denorm_src 0
		.amdhsa_exception_fp_ieee_div_zero 0
		.amdhsa_exception_fp_ieee_overflow 0
		.amdhsa_exception_fp_ieee_underflow 0
		.amdhsa_exception_fp_ieee_inexact 0
		.amdhsa_exception_int_div_zero 0
	.end_amdhsa_kernel
	.section	.text._Z19threads_copy_kernelIiLi1EEvPKT_PS0_m,"axG",@progbits,_Z19threads_copy_kernelIiLi1EEvPKT_PS0_m,comdat
.Lfunc_end0:
	.size	_Z19threads_copy_kernelIiLi1EEvPKT_PS0_m, .Lfunc_end0-_Z19threads_copy_kernelIiLi1EEvPKT_PS0_m
                                        ; -- End function
	.set _Z19threads_copy_kernelIiLi1EEvPKT_PS0_m.num_vgpr, 4
	.set _Z19threads_copy_kernelIiLi1EEvPKT_PS0_m.num_agpr, 0
	.set _Z19threads_copy_kernelIiLi1EEvPKT_PS0_m.numbered_sgpr, 8
	.set _Z19threads_copy_kernelIiLi1EEvPKT_PS0_m.num_named_barrier, 0
	.set _Z19threads_copy_kernelIiLi1EEvPKT_PS0_m.private_seg_size, 0
	.set _Z19threads_copy_kernelIiLi1EEvPKT_PS0_m.uses_vcc, 1
	.set _Z19threads_copy_kernelIiLi1EEvPKT_PS0_m.uses_flat_scratch, 0
	.set _Z19threads_copy_kernelIiLi1EEvPKT_PS0_m.has_dyn_sized_stack, 0
	.set _Z19threads_copy_kernelIiLi1EEvPKT_PS0_m.has_recursion, 0
	.set _Z19threads_copy_kernelIiLi1EEvPKT_PS0_m.has_indirect_call, 0
	.section	.AMDGPU.csdata,"",@progbits
; Kernel info:
; codeLenInByte = 156
; TotalNumSgprs: 10
; NumVgprs: 4
; ScratchSize: 0
; MemoryBound: 0
; FloatMode: 240
; IeeeMode: 1
; LDSByteSize: 0 bytes/workgroup (compile time only)
; SGPRBlocks: 0
; VGPRBlocks: 0
; NumSGPRsForWavesPerEU: 10
; NumVGPRsForWavesPerEU: 4
; NamedBarCnt: 0
; Occupancy: 16
; WaveLimiterHint : 0
; COMPUTE_PGM_RSRC2:SCRATCH_EN: 0
; COMPUTE_PGM_RSRC2:USER_SGPR: 2
; COMPUTE_PGM_RSRC2:TRAP_HANDLER: 0
; COMPUTE_PGM_RSRC2:TGID_X_EN: 1
; COMPUTE_PGM_RSRC2:TGID_Y_EN: 0
; COMPUTE_PGM_RSRC2:TGID_Z_EN: 0
; COMPUTE_PGM_RSRC2:TIDIG_COMP_CNT: 0
	.section	.text._Z19threads_copy_kernelIiLi2EEvPKT_PS0_m,"axG",@progbits,_Z19threads_copy_kernelIiLi2EEvPKT_PS0_m,comdat
	.protected	_Z19threads_copy_kernelIiLi2EEvPKT_PS0_m ; -- Begin function _Z19threads_copy_kernelIiLi2EEvPKT_PS0_m
	.globl	_Z19threads_copy_kernelIiLi2EEvPKT_PS0_m
	.p2align	8
	.type	_Z19threads_copy_kernelIiLi2EEvPKT_PS0_m,@function
_Z19threads_copy_kernelIiLi2EEvPKT_PS0_m: ; @_Z19threads_copy_kernelIiLi2EEvPKT_PS0_m
; %bb.0:
	s_load_b32 s2, s[0:1], 0x24
	s_bfe_u32 s3, ttmp6, 0x4000c
	s_and_b32 s4, ttmp6, 15
	s_add_co_i32 s3, s3, 1
	s_getreg_b32 s5, hwreg(HW_REG_IB_STS2, 6, 4)
	s_mul_i32 s3, ttmp9, s3
	v_dual_mov_b32 v3, 0 :: v_dual_lshlrev_b32 v2, 1, v0
	s_add_co_i32 s4, s4, s3
	s_mov_b32 s7, 0
	s_mov_b32 s9, exec_lo
	s_wait_kmcnt 0x0
	s_and_b32 s6, s2, 0xffff
	s_cmp_eq_u32 s5, 0
	s_cselect_b32 s8, ttmp9, s4
	s_load_b64 s[4:5], s[0:1], 0x10
	s_lshl_b32 s2, s8, 1
	s_delay_alu instid0(SALU_CYCLE_1)
	v_mad_nc_u64_u32 v[2:3], s2, s6, v[2:3]
	s_lshr_b32 s2, s8, 31
	s_delay_alu instid0(VALU_DEP_1) | instid1(SALU_CYCLE_1)
	v_mad_u32 v3, s2, s6, v3
	s_wait_xcnt 0x0
	s_load_b128 s[0:3], s[0:1], 0x0
	s_wait_kmcnt 0x0
	s_delay_alu instid0(VALU_DEP_1) | instskip(NEXT) | instid1(VALU_DEP_1)
	v_sub_nc_u64_e32 v[4:5], s[4:5], v[2:3]
	v_cmpx_lt_u64_e32 1, v[4:5]
	s_xor_b32 s9, exec_lo, s9
	s_cbranch_execz .LBB1_2
; %bb.1:
	v_lshlrev_b64_e32 v[0:1], 2, v[2:3]
	s_delay_alu instid0(VALU_DEP_1)
	v_add_nc_u64_e32 v[2:3], s[0:1], v[0:1]
	v_add_nc_u64_e32 v[0:1], s[2:3], v[0:1]
	global_load_b64 v[2:3], v[2:3], off
	s_wait_loadcnt 0x0
	global_store_b64 v[0:1], v[2:3], off
                                        ; implicit-def: $vgpr2_vgpr3
                                        ; implicit-def: $vgpr0
.LBB1_2:
	s_wait_xcnt 0x0
	s_and_not1_saveexec_b32 s9, s9
	s_cbranch_execz .LBB1_6
; %bb.3:
	s_mov_b32 s9, exec_lo
	v_cmpx_gt_u64_e64 s[4:5], v[2:3]
	s_cbranch_execz .LBB1_6
; %bb.4:
	v_dual_mov_b32 v1, 0 :: v_dual_lshlrev_b32 v0, 3, v0
	s_mov_b32 s9, s7
	s_delay_alu instid0(SALU_CYCLE_1)
	s_mul_u64 s[6:7], s[8:9], s[6:7]
	s_delay_alu instid0(VALU_DEP_1) | instid1(SALU_CYCLE_1)
	v_lshl_add_u64 v[4:5], s[6:7], 3, v[0:1]
	s_delay_alu instid0(VALU_DEP_1)
	v_add_nc_u64_e32 v[0:1], s[2:3], v[4:5]
	v_add_nc_u64_e32 v[4:5], s[0:1], v[4:5]
	s_mov_b32 s0, 0
.LBB1_5:                                ; =>This Inner Loop Header: Depth=1
	global_load_b32 v6, v[4:5], off
	v_add_nc_u64_e32 v[2:3], 1, v[2:3]
	s_wait_xcnt 0x0
	v_add_nc_u64_e32 v[4:5], 4, v[4:5]
	s_delay_alu instid0(VALU_DEP_2)
	v_cmp_le_u64_e32 vcc_lo, s[4:5], v[2:3]
	s_or_b32 s0, vcc_lo, s0
	s_wait_loadcnt 0x0
	global_store_b32 v[0:1], v6, off
	s_wait_xcnt 0x0
	v_add_nc_u64_e32 v[0:1], 4, v[0:1]
	s_and_not1_b32 exec_lo, exec_lo, s0
	s_cbranch_execnz .LBB1_5
.LBB1_6:
	s_endpgm
	.section	.rodata,"a",@progbits
	.p2align	6, 0x0
	.amdhsa_kernel _Z19threads_copy_kernelIiLi2EEvPKT_PS0_m
		.amdhsa_group_segment_fixed_size 0
		.amdhsa_private_segment_fixed_size 0
		.amdhsa_kernarg_size 280
		.amdhsa_user_sgpr_count 2
		.amdhsa_user_sgpr_dispatch_ptr 0
		.amdhsa_user_sgpr_queue_ptr 0
		.amdhsa_user_sgpr_kernarg_segment_ptr 1
		.amdhsa_user_sgpr_dispatch_id 0
		.amdhsa_user_sgpr_kernarg_preload_length 0
		.amdhsa_user_sgpr_kernarg_preload_offset 0
		.amdhsa_user_sgpr_private_segment_size 0
		.amdhsa_wavefront_size32 1
		.amdhsa_uses_dynamic_stack 0
		.amdhsa_enable_private_segment 0
		.amdhsa_system_sgpr_workgroup_id_x 1
		.amdhsa_system_sgpr_workgroup_id_y 0
		.amdhsa_system_sgpr_workgroup_id_z 0
		.amdhsa_system_sgpr_workgroup_info 0
		.amdhsa_system_vgpr_workitem_id 0
		.amdhsa_next_free_vgpr 7
		.amdhsa_next_free_sgpr 10
		.amdhsa_named_barrier_count 0
		.amdhsa_reserve_vcc 1
		.amdhsa_float_round_mode_32 0
		.amdhsa_float_round_mode_16_64 0
		.amdhsa_float_denorm_mode_32 3
		.amdhsa_float_denorm_mode_16_64 3
		.amdhsa_fp16_overflow 0
		.amdhsa_memory_ordered 1
		.amdhsa_forward_progress 1
		.amdhsa_inst_pref_size 3
		.amdhsa_round_robin_scheduling 0
		.amdhsa_exception_fp_ieee_invalid_op 0
		.amdhsa_exception_fp_denorm_src 0
		.amdhsa_exception_fp_ieee_div_zero 0
		.amdhsa_exception_fp_ieee_overflow 0
		.amdhsa_exception_fp_ieee_underflow 0
		.amdhsa_exception_fp_ieee_inexact 0
		.amdhsa_exception_int_div_zero 0
	.end_amdhsa_kernel
	.section	.text._Z19threads_copy_kernelIiLi2EEvPKT_PS0_m,"axG",@progbits,_Z19threads_copy_kernelIiLi2EEvPKT_PS0_m,comdat
.Lfunc_end1:
	.size	_Z19threads_copy_kernelIiLi2EEvPKT_PS0_m, .Lfunc_end1-_Z19threads_copy_kernelIiLi2EEvPKT_PS0_m
                                        ; -- End function
	.set _Z19threads_copy_kernelIiLi2EEvPKT_PS0_m.num_vgpr, 7
	.set _Z19threads_copy_kernelIiLi2EEvPKT_PS0_m.num_agpr, 0
	.set _Z19threads_copy_kernelIiLi2EEvPKT_PS0_m.numbered_sgpr, 10
	.set _Z19threads_copy_kernelIiLi2EEvPKT_PS0_m.num_named_barrier, 0
	.set _Z19threads_copy_kernelIiLi2EEvPKT_PS0_m.private_seg_size, 0
	.set _Z19threads_copy_kernelIiLi2EEvPKT_PS0_m.uses_vcc, 1
	.set _Z19threads_copy_kernelIiLi2EEvPKT_PS0_m.uses_flat_scratch, 0
	.set _Z19threads_copy_kernelIiLi2EEvPKT_PS0_m.has_dyn_sized_stack, 0
	.set _Z19threads_copy_kernelIiLi2EEvPKT_PS0_m.has_recursion, 0
	.set _Z19threads_copy_kernelIiLi2EEvPKT_PS0_m.has_indirect_call, 0
	.section	.AMDGPU.csdata,"",@progbits
; Kernel info:
; codeLenInByte = 340
; TotalNumSgprs: 12
; NumVgprs: 7
; ScratchSize: 0
; MemoryBound: 0
; FloatMode: 240
; IeeeMode: 1
; LDSByteSize: 0 bytes/workgroup (compile time only)
; SGPRBlocks: 0
; VGPRBlocks: 0
; NumSGPRsForWavesPerEU: 12
; NumVGPRsForWavesPerEU: 7
; NamedBarCnt: 0
; Occupancy: 16
; WaveLimiterHint : 0
; COMPUTE_PGM_RSRC2:SCRATCH_EN: 0
; COMPUTE_PGM_RSRC2:USER_SGPR: 2
; COMPUTE_PGM_RSRC2:TRAP_HANDLER: 0
; COMPUTE_PGM_RSRC2:TGID_X_EN: 1
; COMPUTE_PGM_RSRC2:TGID_Y_EN: 0
; COMPUTE_PGM_RSRC2:TGID_Z_EN: 0
; COMPUTE_PGM_RSRC2:TIDIG_COMP_CNT: 0
	.section	.text._Z19threads_copy_kernelIiLi4EEvPKT_PS0_m,"axG",@progbits,_Z19threads_copy_kernelIiLi4EEvPKT_PS0_m,comdat
	.protected	_Z19threads_copy_kernelIiLi4EEvPKT_PS0_m ; -- Begin function _Z19threads_copy_kernelIiLi4EEvPKT_PS0_m
	.globl	_Z19threads_copy_kernelIiLi4EEvPKT_PS0_m
	.p2align	8
	.type	_Z19threads_copy_kernelIiLi4EEvPKT_PS0_m,@function
_Z19threads_copy_kernelIiLi4EEvPKT_PS0_m: ; @_Z19threads_copy_kernelIiLi4EEvPKT_PS0_m
; %bb.0:
	s_load_b32 s2, s[0:1], 0x24
	s_bfe_u32 s3, ttmp6, 0x4000c
	s_and_b32 s4, ttmp6, 15
	s_add_co_i32 s3, s3, 1
	s_getreg_b32 s5, hwreg(HW_REG_IB_STS2, 6, 4)
	s_mul_i32 s3, ttmp9, s3
	v_dual_mov_b32 v3, 0 :: v_dual_lshlrev_b32 v2, 2, v0
	s_add_co_i32 s4, s4, s3
	s_mov_b32 s7, 0
	s_mov_b32 s9, exec_lo
	s_wait_kmcnt 0x0
	s_and_b32 s6, s2, 0xffff
	s_cmp_eq_u32 s5, 0
	s_cselect_b32 s8, ttmp9, s4
	s_load_b64 s[4:5], s[0:1], 0x10
	s_lshl_b32 s2, s8, 2
	s_delay_alu instid0(SALU_CYCLE_1)
	v_mad_nc_u64_u32 v[2:3], s2, s6, v[2:3]
	s_lshr_b32 s2, s8, 30
	s_delay_alu instid0(VALU_DEP_1) | instid1(SALU_CYCLE_1)
	v_mad_u32 v3, s2, s6, v3
	s_wait_xcnt 0x0
	s_load_b128 s[0:3], s[0:1], 0x0
	s_wait_kmcnt 0x0
	s_delay_alu instid0(VALU_DEP_1) | instskip(NEXT) | instid1(VALU_DEP_1)
	v_sub_nc_u64_e32 v[4:5], s[4:5], v[2:3]
	v_cmpx_lt_u64_e32 3, v[4:5]
	s_xor_b32 s9, exec_lo, s9
	s_cbranch_execz .LBB2_2
; %bb.1:
	v_lshlrev_b64_e32 v[4:5], 2, v[2:3]
	s_delay_alu instid0(VALU_DEP_1)
	v_add_nc_u64_e32 v[0:1], s[0:1], v[4:5]
	v_add_nc_u64_e32 v[4:5], s[2:3], v[4:5]
	global_load_b128 v[0:3], v[0:1], off
	s_wait_loadcnt 0x0
	global_store_b128 v[4:5], v[0:3], off
                                        ; implicit-def: $vgpr2_vgpr3
                                        ; implicit-def: $vgpr0
.LBB2_2:
	s_wait_xcnt 0x0
	s_and_not1_saveexec_b32 s9, s9
	s_cbranch_execz .LBB2_6
; %bb.3:
	s_mov_b32 s9, exec_lo
	v_cmpx_gt_u64_e64 s[4:5], v[2:3]
	s_cbranch_execz .LBB2_6
; %bb.4:
	v_dual_mov_b32 v1, 0 :: v_dual_lshlrev_b32 v0, 4, v0
	s_mov_b32 s9, s7
	s_delay_alu instid0(SALU_CYCLE_1)
	s_mul_u64 s[6:7], s[8:9], s[6:7]
	s_delay_alu instid0(VALU_DEP_1) | instid1(SALU_CYCLE_1)
	v_lshl_add_u64 v[4:5], s[6:7], 4, v[0:1]
	s_delay_alu instid0(VALU_DEP_1)
	v_add_nc_u64_e32 v[0:1], s[2:3], v[4:5]
	v_add_nc_u64_e32 v[4:5], s[0:1], v[4:5]
	s_mov_b32 s0, 0
.LBB2_5:                                ; =>This Inner Loop Header: Depth=1
	global_load_b32 v6, v[4:5], off
	v_add_nc_u64_e32 v[2:3], 1, v[2:3]
	s_wait_xcnt 0x0
	v_add_nc_u64_e32 v[4:5], 4, v[4:5]
	s_delay_alu instid0(VALU_DEP_2)
	v_cmp_le_u64_e32 vcc_lo, s[4:5], v[2:3]
	s_or_b32 s0, vcc_lo, s0
	s_wait_loadcnt 0x0
	global_store_b32 v[0:1], v6, off
	s_wait_xcnt 0x0
	v_add_nc_u64_e32 v[0:1], 4, v[0:1]
	s_and_not1_b32 exec_lo, exec_lo, s0
	s_cbranch_execnz .LBB2_5
.LBB2_6:
	s_endpgm
	.section	.rodata,"a",@progbits
	.p2align	6, 0x0
	.amdhsa_kernel _Z19threads_copy_kernelIiLi4EEvPKT_PS0_m
		.amdhsa_group_segment_fixed_size 0
		.amdhsa_private_segment_fixed_size 0
		.amdhsa_kernarg_size 280
		.amdhsa_user_sgpr_count 2
		.amdhsa_user_sgpr_dispatch_ptr 0
		.amdhsa_user_sgpr_queue_ptr 0
		.amdhsa_user_sgpr_kernarg_segment_ptr 1
		.amdhsa_user_sgpr_dispatch_id 0
		.amdhsa_user_sgpr_kernarg_preload_length 0
		.amdhsa_user_sgpr_kernarg_preload_offset 0
		.amdhsa_user_sgpr_private_segment_size 0
		.amdhsa_wavefront_size32 1
		.amdhsa_uses_dynamic_stack 0
		.amdhsa_enable_private_segment 0
		.amdhsa_system_sgpr_workgroup_id_x 1
		.amdhsa_system_sgpr_workgroup_id_y 0
		.amdhsa_system_sgpr_workgroup_id_z 0
		.amdhsa_system_sgpr_workgroup_info 0
		.amdhsa_system_vgpr_workitem_id 0
		.amdhsa_next_free_vgpr 7
		.amdhsa_next_free_sgpr 10
		.amdhsa_named_barrier_count 0
		.amdhsa_reserve_vcc 1
		.amdhsa_float_round_mode_32 0
		.amdhsa_float_round_mode_16_64 0
		.amdhsa_float_denorm_mode_32 3
		.amdhsa_float_denorm_mode_16_64 3
		.amdhsa_fp16_overflow 0
		.amdhsa_memory_ordered 1
		.amdhsa_forward_progress 1
		.amdhsa_inst_pref_size 3
		.amdhsa_round_robin_scheduling 0
		.amdhsa_exception_fp_ieee_invalid_op 0
		.amdhsa_exception_fp_denorm_src 0
		.amdhsa_exception_fp_ieee_div_zero 0
		.amdhsa_exception_fp_ieee_overflow 0
		.amdhsa_exception_fp_ieee_underflow 0
		.amdhsa_exception_fp_ieee_inexact 0
		.amdhsa_exception_int_div_zero 0
	.end_amdhsa_kernel
	.section	.text._Z19threads_copy_kernelIiLi4EEvPKT_PS0_m,"axG",@progbits,_Z19threads_copy_kernelIiLi4EEvPKT_PS0_m,comdat
.Lfunc_end2:
	.size	_Z19threads_copy_kernelIiLi4EEvPKT_PS0_m, .Lfunc_end2-_Z19threads_copy_kernelIiLi4EEvPKT_PS0_m
                                        ; -- End function
	.set _Z19threads_copy_kernelIiLi4EEvPKT_PS0_m.num_vgpr, 7
	.set _Z19threads_copy_kernelIiLi4EEvPKT_PS0_m.num_agpr, 0
	.set _Z19threads_copy_kernelIiLi4EEvPKT_PS0_m.numbered_sgpr, 10
	.set _Z19threads_copy_kernelIiLi4EEvPKT_PS0_m.num_named_barrier, 0
	.set _Z19threads_copy_kernelIiLi4EEvPKT_PS0_m.private_seg_size, 0
	.set _Z19threads_copy_kernelIiLi4EEvPKT_PS0_m.uses_vcc, 1
	.set _Z19threads_copy_kernelIiLi4EEvPKT_PS0_m.uses_flat_scratch, 0
	.set _Z19threads_copy_kernelIiLi4EEvPKT_PS0_m.has_dyn_sized_stack, 0
	.set _Z19threads_copy_kernelIiLi4EEvPKT_PS0_m.has_recursion, 0
	.set _Z19threads_copy_kernelIiLi4EEvPKT_PS0_m.has_indirect_call, 0
	.section	.AMDGPU.csdata,"",@progbits
; Kernel info:
; codeLenInByte = 340
; TotalNumSgprs: 12
; NumVgprs: 7
; ScratchSize: 0
; MemoryBound: 0
; FloatMode: 240
; IeeeMode: 1
; LDSByteSize: 0 bytes/workgroup (compile time only)
; SGPRBlocks: 0
; VGPRBlocks: 0
; NumSGPRsForWavesPerEU: 12
; NumVGPRsForWavesPerEU: 7
; NamedBarCnt: 0
; Occupancy: 16
; WaveLimiterHint : 0
; COMPUTE_PGM_RSRC2:SCRATCH_EN: 0
; COMPUTE_PGM_RSRC2:USER_SGPR: 2
; COMPUTE_PGM_RSRC2:TRAP_HANDLER: 0
; COMPUTE_PGM_RSRC2:TGID_X_EN: 1
; COMPUTE_PGM_RSRC2:TGID_Y_EN: 0
; COMPUTE_PGM_RSRC2:TGID_Z_EN: 0
; COMPUTE_PGM_RSRC2:TIDIG_COMP_CNT: 0
	.section	.text._Z19threads_copy_kernelIiLi8EEvPKT_PS0_m,"axG",@progbits,_Z19threads_copy_kernelIiLi8EEvPKT_PS0_m,comdat
	.protected	_Z19threads_copy_kernelIiLi8EEvPKT_PS0_m ; -- Begin function _Z19threads_copy_kernelIiLi8EEvPKT_PS0_m
	.globl	_Z19threads_copy_kernelIiLi8EEvPKT_PS0_m
	.p2align	8
	.type	_Z19threads_copy_kernelIiLi8EEvPKT_PS0_m,@function
_Z19threads_copy_kernelIiLi8EEvPKT_PS0_m: ; @_Z19threads_copy_kernelIiLi8EEvPKT_PS0_m
; %bb.0:
	s_load_b32 s2, s[0:1], 0x24
	s_bfe_u32 s3, ttmp6, 0x4000c
	s_and_b32 s4, ttmp6, 15
	s_add_co_i32 s3, s3, 1
	s_getreg_b32 s5, hwreg(HW_REG_IB_STS2, 6, 4)
	s_mul_i32 s3, ttmp9, s3
	v_dual_mov_b32 v3, 0 :: v_dual_lshlrev_b32 v2, 3, v0
	s_add_co_i32 s4, s4, s3
	s_mov_b32 s7, 0
	s_mov_b32 s9, exec_lo
	s_wait_kmcnt 0x0
	s_and_b32 s6, s2, 0xffff
	s_cmp_eq_u32 s5, 0
	s_cselect_b32 s8, ttmp9, s4
	s_load_b64 s[4:5], s[0:1], 0x10
	s_lshl_b32 s2, s8, 3
	s_delay_alu instid0(SALU_CYCLE_1)
	v_mad_nc_u64_u32 v[2:3], s2, s6, v[2:3]
	s_lshr_b32 s2, s8, 29
	s_delay_alu instid0(VALU_DEP_1) | instid1(SALU_CYCLE_1)
	v_mad_u32 v3, s2, s6, v3
	s_wait_xcnt 0x0
	s_load_b128 s[0:3], s[0:1], 0x0
	s_wait_kmcnt 0x0
	s_delay_alu instid0(VALU_DEP_1) | instskip(NEXT) | instid1(VALU_DEP_1)
	v_sub_nc_u64_e32 v[4:5], s[4:5], v[2:3]
	v_cmpx_lt_u64_e32 7, v[4:5]
	s_xor_b32 s9, exec_lo, s9
	s_cbranch_execz .LBB3_2
; %bb.1:
	v_lshlrev_b64_e32 v[4:5], 2, v[2:3]
	s_delay_alu instid0(VALU_DEP_1)
	v_add_nc_u64_e32 v[6:7], s[0:1], v[4:5]
	v_add_nc_u64_e32 v[4:5], s[2:3], v[4:5]
	global_load_b128 v[0:3], v[6:7], off offset:16
	s_wait_loadcnt 0x0
	global_store_b128 v[4:5], v[0:3], off offset:16
	global_load_b128 v[0:3], v[6:7], off
	s_wait_loadcnt 0x0
	global_store_b128 v[4:5], v[0:3], off
                                        ; implicit-def: $vgpr2_vgpr3
                                        ; implicit-def: $vgpr0
.LBB3_2:
	s_wait_xcnt 0x0
	s_and_not1_saveexec_b32 s9, s9
	s_cbranch_execz .LBB3_6
; %bb.3:
	s_mov_b32 s9, exec_lo
	v_cmpx_gt_u64_e64 s[4:5], v[2:3]
	s_cbranch_execz .LBB3_6
; %bb.4:
	s_mov_b32 s9, s7
	v_dual_mov_b32 v1, 0 :: v_dual_lshlrev_b32 v0, 5, v0
	s_mul_u64 s[6:7], s[8:9], s[6:7]
	s_delay_alu instid0(SALU_CYCLE_1)
	s_lshl_b64 s[6:7], s[6:7], 5
	s_delay_alu instid0(VALU_DEP_1) | instid1(SALU_CYCLE_1)
	v_add_nc_u64_e32 v[4:5], s[6:7], v[0:1]
	s_delay_alu instid0(VALU_DEP_1)
	v_add_nc_u64_e32 v[0:1], s[2:3], v[4:5]
	v_add_nc_u64_e32 v[4:5], s[0:1], v[4:5]
	s_mov_b32 s0, 0
.LBB3_5:                                ; =>This Inner Loop Header: Depth=1
	global_load_b32 v6, v[4:5], off
	v_add_nc_u64_e32 v[2:3], 1, v[2:3]
	s_wait_xcnt 0x0
	v_add_nc_u64_e32 v[4:5], 4, v[4:5]
	s_delay_alu instid0(VALU_DEP_2)
	v_cmp_le_u64_e32 vcc_lo, s[4:5], v[2:3]
	s_or_b32 s0, vcc_lo, s0
	s_wait_loadcnt 0x0
	global_store_b32 v[0:1], v6, off
	s_wait_xcnt 0x0
	v_add_nc_u64_e32 v[0:1], 4, v[0:1]
	s_and_not1_b32 exec_lo, exec_lo, s0
	s_cbranch_execnz .LBB3_5
.LBB3_6:
	s_endpgm
	.section	.rodata,"a",@progbits
	.p2align	6, 0x0
	.amdhsa_kernel _Z19threads_copy_kernelIiLi8EEvPKT_PS0_m
		.amdhsa_group_segment_fixed_size 0
		.amdhsa_private_segment_fixed_size 0
		.amdhsa_kernarg_size 280
		.amdhsa_user_sgpr_count 2
		.amdhsa_user_sgpr_dispatch_ptr 0
		.amdhsa_user_sgpr_queue_ptr 0
		.amdhsa_user_sgpr_kernarg_segment_ptr 1
		.amdhsa_user_sgpr_dispatch_id 0
		.amdhsa_user_sgpr_kernarg_preload_length 0
		.amdhsa_user_sgpr_kernarg_preload_offset 0
		.amdhsa_user_sgpr_private_segment_size 0
		.amdhsa_wavefront_size32 1
		.amdhsa_uses_dynamic_stack 0
		.amdhsa_enable_private_segment 0
		.amdhsa_system_sgpr_workgroup_id_x 1
		.amdhsa_system_sgpr_workgroup_id_y 0
		.amdhsa_system_sgpr_workgroup_id_z 0
		.amdhsa_system_sgpr_workgroup_info 0
		.amdhsa_system_vgpr_workitem_id 0
		.amdhsa_next_free_vgpr 8
		.amdhsa_next_free_sgpr 10
		.amdhsa_named_barrier_count 0
		.amdhsa_reserve_vcc 1
		.amdhsa_float_round_mode_32 0
		.amdhsa_float_round_mode_16_64 0
		.amdhsa_float_denorm_mode_32 3
		.amdhsa_float_denorm_mode_16_64 3
		.amdhsa_fp16_overflow 0
		.amdhsa_memory_ordered 1
		.amdhsa_forward_progress 1
		.amdhsa_inst_pref_size 3
		.amdhsa_round_robin_scheduling 0
		.amdhsa_exception_fp_ieee_invalid_op 0
		.amdhsa_exception_fp_denorm_src 0
		.amdhsa_exception_fp_ieee_div_zero 0
		.amdhsa_exception_fp_ieee_overflow 0
		.amdhsa_exception_fp_ieee_underflow 0
		.amdhsa_exception_fp_ieee_inexact 0
		.amdhsa_exception_int_div_zero 0
	.end_amdhsa_kernel
	.section	.text._Z19threads_copy_kernelIiLi8EEvPKT_PS0_m,"axG",@progbits,_Z19threads_copy_kernelIiLi8EEvPKT_PS0_m,comdat
.Lfunc_end3:
	.size	_Z19threads_copy_kernelIiLi8EEvPKT_PS0_m, .Lfunc_end3-_Z19threads_copy_kernelIiLi8EEvPKT_PS0_m
                                        ; -- End function
	.set _Z19threads_copy_kernelIiLi8EEvPKT_PS0_m.num_vgpr, 8
	.set _Z19threads_copy_kernelIiLi8EEvPKT_PS0_m.num_agpr, 0
	.set _Z19threads_copy_kernelIiLi8EEvPKT_PS0_m.numbered_sgpr, 10
	.set _Z19threads_copy_kernelIiLi8EEvPKT_PS0_m.num_named_barrier, 0
	.set _Z19threads_copy_kernelIiLi8EEvPKT_PS0_m.private_seg_size, 0
	.set _Z19threads_copy_kernelIiLi8EEvPKT_PS0_m.uses_vcc, 1
	.set _Z19threads_copy_kernelIiLi8EEvPKT_PS0_m.uses_flat_scratch, 0
	.set _Z19threads_copy_kernelIiLi8EEvPKT_PS0_m.has_dyn_sized_stack, 0
	.set _Z19threads_copy_kernelIiLi8EEvPKT_PS0_m.has_recursion, 0
	.set _Z19threads_copy_kernelIiLi8EEvPKT_PS0_m.has_indirect_call, 0
	.section	.AMDGPU.csdata,"",@progbits
; Kernel info:
; codeLenInByte = 368
; TotalNumSgprs: 12
; NumVgprs: 8
; ScratchSize: 0
; MemoryBound: 0
; FloatMode: 240
; IeeeMode: 1
; LDSByteSize: 0 bytes/workgroup (compile time only)
; SGPRBlocks: 0
; VGPRBlocks: 0
; NumSGPRsForWavesPerEU: 12
; NumVGPRsForWavesPerEU: 8
; NamedBarCnt: 0
; Occupancy: 16
; WaveLimiterHint : 0
; COMPUTE_PGM_RSRC2:SCRATCH_EN: 0
; COMPUTE_PGM_RSRC2:USER_SGPR: 2
; COMPUTE_PGM_RSRC2:TRAP_HANDLER: 0
; COMPUTE_PGM_RSRC2:TGID_X_EN: 1
; COMPUTE_PGM_RSRC2:TGID_Y_EN: 0
; COMPUTE_PGM_RSRC2:TGID_Z_EN: 0
; COMPUTE_PGM_RSRC2:TIDIG_COMP_CNT: 0
	.section	.text._Z19threads_copy_kernelIiLi16EEvPKT_PS0_m,"axG",@progbits,_Z19threads_copy_kernelIiLi16EEvPKT_PS0_m,comdat
	.protected	_Z19threads_copy_kernelIiLi16EEvPKT_PS0_m ; -- Begin function _Z19threads_copy_kernelIiLi16EEvPKT_PS0_m
	.globl	_Z19threads_copy_kernelIiLi16EEvPKT_PS0_m
	.p2align	8
	.type	_Z19threads_copy_kernelIiLi16EEvPKT_PS0_m,@function
_Z19threads_copy_kernelIiLi16EEvPKT_PS0_m: ; @_Z19threads_copy_kernelIiLi16EEvPKT_PS0_m
; %bb.0:
	s_load_b32 s2, s[0:1], 0x24
	s_bfe_u32 s3, ttmp6, 0x4000c
	s_and_b32 s4, ttmp6, 15
	s_add_co_i32 s3, s3, 1
	s_getreg_b32 s5, hwreg(HW_REG_IB_STS2, 6, 4)
	s_mul_i32 s3, ttmp9, s3
	v_dual_mov_b32 v3, 0 :: v_dual_lshlrev_b32 v2, 4, v0
	s_add_co_i32 s4, s4, s3
	s_mov_b32 s7, 0
	s_mov_b32 s9, exec_lo
	s_wait_kmcnt 0x0
	s_and_b32 s6, s2, 0xffff
	s_cmp_eq_u32 s5, 0
	s_cselect_b32 s8, ttmp9, s4
	s_load_b64 s[4:5], s[0:1], 0x10
	s_lshl_b32 s2, s8, 4
	s_delay_alu instid0(SALU_CYCLE_1)
	v_mad_nc_u64_u32 v[2:3], s2, s6, v[2:3]
	s_lshr_b32 s2, s8, 28
	s_delay_alu instid0(VALU_DEP_1) | instid1(SALU_CYCLE_1)
	v_mad_u32 v3, s2, s6, v3
	s_wait_xcnt 0x0
	s_load_b128 s[0:3], s[0:1], 0x0
	s_wait_kmcnt 0x0
	s_delay_alu instid0(VALU_DEP_1) | instskip(NEXT) | instid1(VALU_DEP_1)
	v_sub_nc_u64_e32 v[4:5], s[4:5], v[2:3]
	v_cmpx_lt_u64_e32 15, v[4:5]
	s_xor_b32 s9, exec_lo, s9
	s_cbranch_execz .LBB4_2
; %bb.1:
	v_lshlrev_b64_e32 v[12:13], 2, v[2:3]
	s_delay_alu instid0(VALU_DEP_1)
	v_add_nc_u64_e32 v[14:15], s[0:1], v[12:13]
	v_add_nc_u64_e32 v[12:13], s[2:3], v[12:13]
	s_clause 0x2
	global_load_b128 v[0:3], v[14:15], off offset:16
	global_load_b128 v[4:7], v[14:15], off offset:32
	;; [unrolled: 1-line block ×3, first 2 shown]
	s_wait_loadcnt 0x2
	global_store_b128 v[12:13], v[0:3], off offset:16
	s_wait_loadcnt 0x1
	global_store_b128 v[12:13], v[4:7], off offset:32
	;; [unrolled: 2-line block ×3, first 2 shown]
	global_load_b128 v[0:3], v[14:15], off
	s_wait_loadcnt 0x0
	global_store_b128 v[12:13], v[0:3], off
                                        ; implicit-def: $vgpr2_vgpr3
                                        ; implicit-def: $vgpr0
.LBB4_2:
	s_wait_xcnt 0x0
	s_and_not1_saveexec_b32 s9, s9
	s_cbranch_execz .LBB4_6
; %bb.3:
	s_mov_b32 s9, exec_lo
	v_cmpx_gt_u64_e64 s[4:5], v[2:3]
	s_cbranch_execz .LBB4_6
; %bb.4:
	s_mov_b32 s9, s7
	v_dual_mov_b32 v1, 0 :: v_dual_lshlrev_b32 v0, 6, v0
	s_mul_u64 s[6:7], s[8:9], s[6:7]
	s_delay_alu instid0(SALU_CYCLE_1)
	s_lshl_b64 s[6:7], s[6:7], 6
	s_delay_alu instid0(VALU_DEP_1) | instid1(SALU_CYCLE_1)
	v_add_nc_u64_e32 v[4:5], s[6:7], v[0:1]
	s_delay_alu instid0(VALU_DEP_1)
	v_add_nc_u64_e32 v[0:1], s[2:3], v[4:5]
	v_add_nc_u64_e32 v[4:5], s[0:1], v[4:5]
	s_mov_b32 s0, 0
.LBB4_5:                                ; =>This Inner Loop Header: Depth=1
	global_load_b32 v6, v[4:5], off
	v_add_nc_u64_e32 v[2:3], 1, v[2:3]
	s_wait_xcnt 0x0
	v_add_nc_u64_e32 v[4:5], 4, v[4:5]
	s_delay_alu instid0(VALU_DEP_2)
	v_cmp_le_u64_e32 vcc_lo, s[4:5], v[2:3]
	s_or_b32 s0, vcc_lo, s0
	s_wait_loadcnt 0x0
	global_store_b32 v[0:1], v6, off
	s_wait_xcnt 0x0
	v_add_nc_u64_e32 v[0:1], 4, v[0:1]
	s_and_not1_b32 exec_lo, exec_lo, s0
	s_cbranch_execnz .LBB4_5
.LBB4_6:
	s_endpgm
	.section	.rodata,"a",@progbits
	.p2align	6, 0x0
	.amdhsa_kernel _Z19threads_copy_kernelIiLi16EEvPKT_PS0_m
		.amdhsa_group_segment_fixed_size 0
		.amdhsa_private_segment_fixed_size 0
		.amdhsa_kernarg_size 280
		.amdhsa_user_sgpr_count 2
		.amdhsa_user_sgpr_dispatch_ptr 0
		.amdhsa_user_sgpr_queue_ptr 0
		.amdhsa_user_sgpr_kernarg_segment_ptr 1
		.amdhsa_user_sgpr_dispatch_id 0
		.amdhsa_user_sgpr_kernarg_preload_length 0
		.amdhsa_user_sgpr_kernarg_preload_offset 0
		.amdhsa_user_sgpr_private_segment_size 0
		.amdhsa_wavefront_size32 1
		.amdhsa_uses_dynamic_stack 0
		.amdhsa_enable_private_segment 0
		.amdhsa_system_sgpr_workgroup_id_x 1
		.amdhsa_system_sgpr_workgroup_id_y 0
		.amdhsa_system_sgpr_workgroup_id_z 0
		.amdhsa_system_sgpr_workgroup_info 0
		.amdhsa_system_vgpr_workitem_id 0
		.amdhsa_next_free_vgpr 16
		.amdhsa_next_free_sgpr 10
		.amdhsa_named_barrier_count 0
		.amdhsa_reserve_vcc 1
		.amdhsa_float_round_mode_32 0
		.amdhsa_float_round_mode_16_64 0
		.amdhsa_float_denorm_mode_32 3
		.amdhsa_float_denorm_mode_16_64 3
		.amdhsa_fp16_overflow 0
		.amdhsa_memory_ordered 1
		.amdhsa_forward_progress 1
		.amdhsa_inst_pref_size 4
		.amdhsa_round_robin_scheduling 0
		.amdhsa_exception_fp_ieee_invalid_op 0
		.amdhsa_exception_fp_denorm_src 0
		.amdhsa_exception_fp_ieee_div_zero 0
		.amdhsa_exception_fp_ieee_overflow 0
		.amdhsa_exception_fp_ieee_underflow 0
		.amdhsa_exception_fp_ieee_inexact 0
		.amdhsa_exception_int_div_zero 0
	.end_amdhsa_kernel
	.section	.text._Z19threads_copy_kernelIiLi16EEvPKT_PS0_m,"axG",@progbits,_Z19threads_copy_kernelIiLi16EEvPKT_PS0_m,comdat
.Lfunc_end4:
	.size	_Z19threads_copy_kernelIiLi16EEvPKT_PS0_m, .Lfunc_end4-_Z19threads_copy_kernelIiLi16EEvPKT_PS0_m
                                        ; -- End function
	.set _Z19threads_copy_kernelIiLi16EEvPKT_PS0_m.num_vgpr, 16
	.set _Z19threads_copy_kernelIiLi16EEvPKT_PS0_m.num_agpr, 0
	.set _Z19threads_copy_kernelIiLi16EEvPKT_PS0_m.numbered_sgpr, 10
	.set _Z19threads_copy_kernelIiLi16EEvPKT_PS0_m.num_named_barrier, 0
	.set _Z19threads_copy_kernelIiLi16EEvPKT_PS0_m.private_seg_size, 0
	.set _Z19threads_copy_kernelIiLi16EEvPKT_PS0_m.uses_vcc, 1
	.set _Z19threads_copy_kernelIiLi16EEvPKT_PS0_m.uses_flat_scratch, 0
	.set _Z19threads_copy_kernelIiLi16EEvPKT_PS0_m.has_dyn_sized_stack, 0
	.set _Z19threads_copy_kernelIiLi16EEvPKT_PS0_m.has_recursion, 0
	.set _Z19threads_copy_kernelIiLi16EEvPKT_PS0_m.has_indirect_call, 0
	.section	.AMDGPU.csdata,"",@progbits
; Kernel info:
; codeLenInByte = 428
; TotalNumSgprs: 12
; NumVgprs: 16
; ScratchSize: 0
; MemoryBound: 0
; FloatMode: 240
; IeeeMode: 1
; LDSByteSize: 0 bytes/workgroup (compile time only)
; SGPRBlocks: 0
; VGPRBlocks: 0
; NumSGPRsForWavesPerEU: 12
; NumVGPRsForWavesPerEU: 16
; NamedBarCnt: 0
; Occupancy: 16
; WaveLimiterHint : 0
; COMPUTE_PGM_RSRC2:SCRATCH_EN: 0
; COMPUTE_PGM_RSRC2:USER_SGPR: 2
; COMPUTE_PGM_RSRC2:TRAP_HANDLER: 0
; COMPUTE_PGM_RSRC2:TGID_X_EN: 1
; COMPUTE_PGM_RSRC2:TGID_Y_EN: 0
; COMPUTE_PGM_RSRC2:TGID_Z_EN: 0
; COMPUTE_PGM_RSRC2:TIDIG_COMP_CNT: 0
	.section	.text._Z19threads_copy_kernelIsLi1EEvPKT_PS0_m,"axG",@progbits,_Z19threads_copy_kernelIsLi1EEvPKT_PS0_m,comdat
	.protected	_Z19threads_copy_kernelIsLi1EEvPKT_PS0_m ; -- Begin function _Z19threads_copy_kernelIsLi1EEvPKT_PS0_m
	.globl	_Z19threads_copy_kernelIsLi1EEvPKT_PS0_m
	.p2align	8
	.type	_Z19threads_copy_kernelIsLi1EEvPKT_PS0_m,@function
_Z19threads_copy_kernelIsLi1EEvPKT_PS0_m: ; @_Z19threads_copy_kernelIsLi1EEvPKT_PS0_m
; %bb.0:
	s_clause 0x1
	s_load_b32 s4, s[0:1], 0x24
	s_load_b64 s[2:3], s[0:1], 0x10
	s_bfe_u32 s5, ttmp6, 0x4000c
	s_and_b32 s6, ttmp6, 15
	s_add_co_i32 s5, s5, 1
	s_getreg_b32 s7, hwreg(HW_REG_IB_STS2, 6, 4)
	s_mul_i32 s5, ttmp9, s5
	v_mov_b32_e32 v1, 0
	s_add_co_i32 s6, s6, s5
	s_wait_kmcnt 0x0
	s_and_b32 s4, s4, 0xffff
	s_cmp_eq_u32 s7, 0
	s_cselect_b32 s5, ttmp9, s6
	s_delay_alu instid0(SALU_CYCLE_1) | instskip(NEXT) | instid1(VALU_DEP_1)
	v_mad_nc_u64_u32 v[0:1], s4, s5, v[0:1]
	v_cmp_ne_u64_e32 vcc_lo, s[2:3], v[0:1]
	s_and_saveexec_b32 s2, vcc_lo
	s_cbranch_execz .LBB5_2
; %bb.1:
	s_load_b128 s[0:3], s[0:1], 0x0
	v_lshlrev_b64_e32 v[0:1], 1, v[0:1]
	s_wait_kmcnt 0x0
	s_delay_alu instid0(VALU_DEP_1)
	v_add_nc_u64_e32 v[2:3], s[0:1], v[0:1]
	v_add_nc_u64_e32 v[0:1], s[2:3], v[0:1]
	global_load_u16 v2, v[2:3], off
	s_wait_loadcnt 0x0
	global_store_b16 v[0:1], v2, off
.LBB5_2:
	s_endpgm
	.section	.rodata,"a",@progbits
	.p2align	6, 0x0
	.amdhsa_kernel _Z19threads_copy_kernelIsLi1EEvPKT_PS0_m
		.amdhsa_group_segment_fixed_size 0
		.amdhsa_private_segment_fixed_size 0
		.amdhsa_kernarg_size 280
		.amdhsa_user_sgpr_count 2
		.amdhsa_user_sgpr_dispatch_ptr 0
		.amdhsa_user_sgpr_queue_ptr 0
		.amdhsa_user_sgpr_kernarg_segment_ptr 1
		.amdhsa_user_sgpr_dispatch_id 0
		.amdhsa_user_sgpr_kernarg_preload_length 0
		.amdhsa_user_sgpr_kernarg_preload_offset 0
		.amdhsa_user_sgpr_private_segment_size 0
		.amdhsa_wavefront_size32 1
		.amdhsa_uses_dynamic_stack 0
		.amdhsa_enable_private_segment 0
		.amdhsa_system_sgpr_workgroup_id_x 1
		.amdhsa_system_sgpr_workgroup_id_y 0
		.amdhsa_system_sgpr_workgroup_id_z 0
		.amdhsa_system_sgpr_workgroup_info 0
		.amdhsa_system_vgpr_workitem_id 0
		.amdhsa_next_free_vgpr 4
		.amdhsa_next_free_sgpr 8
		.amdhsa_named_barrier_count 0
		.amdhsa_reserve_vcc 1
		.amdhsa_float_round_mode_32 0
		.amdhsa_float_round_mode_16_64 0
		.amdhsa_float_denorm_mode_32 3
		.amdhsa_float_denorm_mode_16_64 3
		.amdhsa_fp16_overflow 0
		.amdhsa_memory_ordered 1
		.amdhsa_forward_progress 1
		.amdhsa_inst_pref_size 2
		.amdhsa_round_robin_scheduling 0
		.amdhsa_exception_fp_ieee_invalid_op 0
		.amdhsa_exception_fp_denorm_src 0
		.amdhsa_exception_fp_ieee_div_zero 0
		.amdhsa_exception_fp_ieee_overflow 0
		.amdhsa_exception_fp_ieee_underflow 0
		.amdhsa_exception_fp_ieee_inexact 0
		.amdhsa_exception_int_div_zero 0
	.end_amdhsa_kernel
	.section	.text._Z19threads_copy_kernelIsLi1EEvPKT_PS0_m,"axG",@progbits,_Z19threads_copy_kernelIsLi1EEvPKT_PS0_m,comdat
.Lfunc_end5:
	.size	_Z19threads_copy_kernelIsLi1EEvPKT_PS0_m, .Lfunc_end5-_Z19threads_copy_kernelIsLi1EEvPKT_PS0_m
                                        ; -- End function
	.set _Z19threads_copy_kernelIsLi1EEvPKT_PS0_m.num_vgpr, 4
	.set _Z19threads_copy_kernelIsLi1EEvPKT_PS0_m.num_agpr, 0
	.set _Z19threads_copy_kernelIsLi1EEvPKT_PS0_m.numbered_sgpr, 8
	.set _Z19threads_copy_kernelIsLi1EEvPKT_PS0_m.num_named_barrier, 0
	.set _Z19threads_copy_kernelIsLi1EEvPKT_PS0_m.private_seg_size, 0
	.set _Z19threads_copy_kernelIsLi1EEvPKT_PS0_m.uses_vcc, 1
	.set _Z19threads_copy_kernelIsLi1EEvPKT_PS0_m.uses_flat_scratch, 0
	.set _Z19threads_copy_kernelIsLi1EEvPKT_PS0_m.has_dyn_sized_stack, 0
	.set _Z19threads_copy_kernelIsLi1EEvPKT_PS0_m.has_recursion, 0
	.set _Z19threads_copy_kernelIsLi1EEvPKT_PS0_m.has_indirect_call, 0
	.section	.AMDGPU.csdata,"",@progbits
; Kernel info:
; codeLenInByte = 156
; TotalNumSgprs: 10
; NumVgprs: 4
; ScratchSize: 0
; MemoryBound: 0
; FloatMode: 240
; IeeeMode: 1
; LDSByteSize: 0 bytes/workgroup (compile time only)
; SGPRBlocks: 0
; VGPRBlocks: 0
; NumSGPRsForWavesPerEU: 10
; NumVGPRsForWavesPerEU: 4
; NamedBarCnt: 0
; Occupancy: 16
; WaveLimiterHint : 0
; COMPUTE_PGM_RSRC2:SCRATCH_EN: 0
; COMPUTE_PGM_RSRC2:USER_SGPR: 2
; COMPUTE_PGM_RSRC2:TRAP_HANDLER: 0
; COMPUTE_PGM_RSRC2:TGID_X_EN: 1
; COMPUTE_PGM_RSRC2:TGID_Y_EN: 0
; COMPUTE_PGM_RSRC2:TGID_Z_EN: 0
; COMPUTE_PGM_RSRC2:TIDIG_COMP_CNT: 0
	.section	.text._Z19threads_copy_kernelIsLi2EEvPKT_PS0_m,"axG",@progbits,_Z19threads_copy_kernelIsLi2EEvPKT_PS0_m,comdat
	.protected	_Z19threads_copy_kernelIsLi2EEvPKT_PS0_m ; -- Begin function _Z19threads_copy_kernelIsLi2EEvPKT_PS0_m
	.globl	_Z19threads_copy_kernelIsLi2EEvPKT_PS0_m
	.p2align	8
	.type	_Z19threads_copy_kernelIsLi2EEvPKT_PS0_m,@function
_Z19threads_copy_kernelIsLi2EEvPKT_PS0_m: ; @_Z19threads_copy_kernelIsLi2EEvPKT_PS0_m
; %bb.0:
	s_load_b32 s2, s[0:1], 0x24
	s_bfe_u32 s3, ttmp6, 0x4000c
	s_and_b32 s4, ttmp6, 15
	s_add_co_i32 s3, s3, 1
	s_getreg_b32 s5, hwreg(HW_REG_IB_STS2, 6, 4)
	s_mul_i32 s3, ttmp9, s3
	v_dual_mov_b32 v3, 0 :: v_dual_lshlrev_b32 v2, 1, v0
	s_add_co_i32 s4, s4, s3
	s_mov_b32 s7, 0
	s_mov_b32 s9, exec_lo
	s_wait_kmcnt 0x0
	s_and_b32 s6, s2, 0xffff
	s_cmp_eq_u32 s5, 0
	s_cselect_b32 s8, ttmp9, s4
	s_load_b64 s[4:5], s[0:1], 0x10
	s_lshl_b32 s2, s8, 1
	s_delay_alu instid0(SALU_CYCLE_1)
	v_mad_nc_u64_u32 v[2:3], s2, s6, v[2:3]
	s_lshr_b32 s2, s8, 31
	s_delay_alu instid0(VALU_DEP_1) | instid1(SALU_CYCLE_1)
	v_mad_u32 v3, s2, s6, v3
	s_wait_xcnt 0x0
	s_load_b128 s[0:3], s[0:1], 0x0
	s_wait_kmcnt 0x0
	s_delay_alu instid0(VALU_DEP_1) | instskip(NEXT) | instid1(VALU_DEP_1)
	v_sub_nc_u64_e32 v[4:5], s[4:5], v[2:3]
	v_cmpx_lt_u64_e32 1, v[4:5]
	s_xor_b32 s9, exec_lo, s9
	s_cbranch_execz .LBB6_2
; %bb.1:
	v_lshlrev_b64_e32 v[0:1], 1, v[2:3]
	s_delay_alu instid0(VALU_DEP_1)
	v_add_nc_u64_e32 v[2:3], s[0:1], v[0:1]
	v_add_nc_u64_e32 v[0:1], s[2:3], v[0:1]
	global_load_b32 v2, v[2:3], off
	s_wait_loadcnt 0x0
	global_store_b32 v[0:1], v2, off
                                        ; implicit-def: $vgpr2_vgpr3
                                        ; implicit-def: $vgpr0
.LBB6_2:
	s_wait_xcnt 0x0
	s_and_not1_saveexec_b32 s9, s9
	s_cbranch_execz .LBB6_6
; %bb.3:
	s_mov_b32 s9, exec_lo
	v_cmpx_gt_u64_e64 s[4:5], v[2:3]
	s_cbranch_execz .LBB6_6
; %bb.4:
	v_dual_mov_b32 v1, 0 :: v_dual_lshlrev_b32 v0, 2, v0
	s_mov_b32 s9, s7
	s_delay_alu instid0(SALU_CYCLE_1)
	s_mul_u64 s[6:7], s[8:9], s[6:7]
	s_delay_alu instid0(VALU_DEP_1) | instid1(SALU_CYCLE_1)
	v_lshl_add_u64 v[4:5], s[6:7], 2, v[0:1]
	s_delay_alu instid0(VALU_DEP_1)
	v_add_nc_u64_e32 v[0:1], s[2:3], v[4:5]
	v_add_nc_u64_e32 v[4:5], s[0:1], v[4:5]
	s_mov_b32 s0, 0
.LBB6_5:                                ; =>This Inner Loop Header: Depth=1
	global_load_u16 v6, v[4:5], off
	v_add_nc_u64_e32 v[2:3], 1, v[2:3]
	s_wait_xcnt 0x0
	v_add_nc_u64_e32 v[4:5], 2, v[4:5]
	s_delay_alu instid0(VALU_DEP_2)
	v_cmp_le_u64_e32 vcc_lo, s[4:5], v[2:3]
	s_or_b32 s0, vcc_lo, s0
	s_wait_loadcnt 0x0
	global_store_b16 v[0:1], v6, off
	s_wait_xcnt 0x0
	v_add_nc_u64_e32 v[0:1], 2, v[0:1]
	s_and_not1_b32 exec_lo, exec_lo, s0
	s_cbranch_execnz .LBB6_5
.LBB6_6:
	s_endpgm
	.section	.rodata,"a",@progbits
	.p2align	6, 0x0
	.amdhsa_kernel _Z19threads_copy_kernelIsLi2EEvPKT_PS0_m
		.amdhsa_group_segment_fixed_size 0
		.amdhsa_private_segment_fixed_size 0
		.amdhsa_kernarg_size 280
		.amdhsa_user_sgpr_count 2
		.amdhsa_user_sgpr_dispatch_ptr 0
		.amdhsa_user_sgpr_queue_ptr 0
		.amdhsa_user_sgpr_kernarg_segment_ptr 1
		.amdhsa_user_sgpr_dispatch_id 0
		.amdhsa_user_sgpr_kernarg_preload_length 0
		.amdhsa_user_sgpr_kernarg_preload_offset 0
		.amdhsa_user_sgpr_private_segment_size 0
		.amdhsa_wavefront_size32 1
		.amdhsa_uses_dynamic_stack 0
		.amdhsa_enable_private_segment 0
		.amdhsa_system_sgpr_workgroup_id_x 1
		.amdhsa_system_sgpr_workgroup_id_y 0
		.amdhsa_system_sgpr_workgroup_id_z 0
		.amdhsa_system_sgpr_workgroup_info 0
		.amdhsa_system_vgpr_workitem_id 0
		.amdhsa_next_free_vgpr 7
		.amdhsa_next_free_sgpr 10
		.amdhsa_named_barrier_count 0
		.amdhsa_reserve_vcc 1
		.amdhsa_float_round_mode_32 0
		.amdhsa_float_round_mode_16_64 0
		.amdhsa_float_denorm_mode_32 3
		.amdhsa_float_denorm_mode_16_64 3
		.amdhsa_fp16_overflow 0
		.amdhsa_memory_ordered 1
		.amdhsa_forward_progress 1
		.amdhsa_inst_pref_size 3
		.amdhsa_round_robin_scheduling 0
		.amdhsa_exception_fp_ieee_invalid_op 0
		.amdhsa_exception_fp_denorm_src 0
		.amdhsa_exception_fp_ieee_div_zero 0
		.amdhsa_exception_fp_ieee_overflow 0
		.amdhsa_exception_fp_ieee_underflow 0
		.amdhsa_exception_fp_ieee_inexact 0
		.amdhsa_exception_int_div_zero 0
	.end_amdhsa_kernel
	.section	.text._Z19threads_copy_kernelIsLi2EEvPKT_PS0_m,"axG",@progbits,_Z19threads_copy_kernelIsLi2EEvPKT_PS0_m,comdat
.Lfunc_end6:
	.size	_Z19threads_copy_kernelIsLi2EEvPKT_PS0_m, .Lfunc_end6-_Z19threads_copy_kernelIsLi2EEvPKT_PS0_m
                                        ; -- End function
	.set _Z19threads_copy_kernelIsLi2EEvPKT_PS0_m.num_vgpr, 7
	.set _Z19threads_copy_kernelIsLi2EEvPKT_PS0_m.num_agpr, 0
	.set _Z19threads_copy_kernelIsLi2EEvPKT_PS0_m.numbered_sgpr, 10
	.set _Z19threads_copy_kernelIsLi2EEvPKT_PS0_m.num_named_barrier, 0
	.set _Z19threads_copy_kernelIsLi2EEvPKT_PS0_m.private_seg_size, 0
	.set _Z19threads_copy_kernelIsLi2EEvPKT_PS0_m.uses_vcc, 1
	.set _Z19threads_copy_kernelIsLi2EEvPKT_PS0_m.uses_flat_scratch, 0
	.set _Z19threads_copy_kernelIsLi2EEvPKT_PS0_m.has_dyn_sized_stack, 0
	.set _Z19threads_copy_kernelIsLi2EEvPKT_PS0_m.has_recursion, 0
	.set _Z19threads_copy_kernelIsLi2EEvPKT_PS0_m.has_indirect_call, 0
	.section	.AMDGPU.csdata,"",@progbits
; Kernel info:
; codeLenInByte = 340
; TotalNumSgprs: 12
; NumVgprs: 7
; ScratchSize: 0
; MemoryBound: 0
; FloatMode: 240
; IeeeMode: 1
; LDSByteSize: 0 bytes/workgroup (compile time only)
; SGPRBlocks: 0
; VGPRBlocks: 0
; NumSGPRsForWavesPerEU: 12
; NumVGPRsForWavesPerEU: 7
; NamedBarCnt: 0
; Occupancy: 16
; WaveLimiterHint : 0
; COMPUTE_PGM_RSRC2:SCRATCH_EN: 0
; COMPUTE_PGM_RSRC2:USER_SGPR: 2
; COMPUTE_PGM_RSRC2:TRAP_HANDLER: 0
; COMPUTE_PGM_RSRC2:TGID_X_EN: 1
; COMPUTE_PGM_RSRC2:TGID_Y_EN: 0
; COMPUTE_PGM_RSRC2:TGID_Z_EN: 0
; COMPUTE_PGM_RSRC2:TIDIG_COMP_CNT: 0
	.section	.text._Z19threads_copy_kernelIsLi4EEvPKT_PS0_m,"axG",@progbits,_Z19threads_copy_kernelIsLi4EEvPKT_PS0_m,comdat
	.protected	_Z19threads_copy_kernelIsLi4EEvPKT_PS0_m ; -- Begin function _Z19threads_copy_kernelIsLi4EEvPKT_PS0_m
	.globl	_Z19threads_copy_kernelIsLi4EEvPKT_PS0_m
	.p2align	8
	.type	_Z19threads_copy_kernelIsLi4EEvPKT_PS0_m,@function
_Z19threads_copy_kernelIsLi4EEvPKT_PS0_m: ; @_Z19threads_copy_kernelIsLi4EEvPKT_PS0_m
; %bb.0:
	s_load_b32 s2, s[0:1], 0x24
	s_bfe_u32 s3, ttmp6, 0x4000c
	s_and_b32 s4, ttmp6, 15
	s_add_co_i32 s3, s3, 1
	s_getreg_b32 s5, hwreg(HW_REG_IB_STS2, 6, 4)
	s_mul_i32 s3, ttmp9, s3
	v_dual_mov_b32 v3, 0 :: v_dual_lshlrev_b32 v2, 2, v0
	s_add_co_i32 s4, s4, s3
	s_mov_b32 s7, 0
	s_mov_b32 s9, exec_lo
	s_wait_kmcnt 0x0
	s_and_b32 s6, s2, 0xffff
	s_cmp_eq_u32 s5, 0
	s_cselect_b32 s8, ttmp9, s4
	s_load_b64 s[4:5], s[0:1], 0x10
	s_lshl_b32 s2, s8, 2
	s_delay_alu instid0(SALU_CYCLE_1)
	v_mad_nc_u64_u32 v[2:3], s2, s6, v[2:3]
	s_lshr_b32 s2, s8, 30
	s_delay_alu instid0(VALU_DEP_1) | instid1(SALU_CYCLE_1)
	v_mad_u32 v3, s2, s6, v3
	s_wait_xcnt 0x0
	s_load_b128 s[0:3], s[0:1], 0x0
	s_wait_kmcnt 0x0
	s_delay_alu instid0(VALU_DEP_1) | instskip(NEXT) | instid1(VALU_DEP_1)
	v_sub_nc_u64_e32 v[4:5], s[4:5], v[2:3]
	v_cmpx_lt_u64_e32 3, v[4:5]
	s_xor_b32 s9, exec_lo, s9
	s_cbranch_execz .LBB7_2
; %bb.1:
	v_lshlrev_b64_e32 v[0:1], 1, v[2:3]
	s_delay_alu instid0(VALU_DEP_1)
	v_add_nc_u64_e32 v[2:3], s[0:1], v[0:1]
	v_add_nc_u64_e32 v[0:1], s[2:3], v[0:1]
	global_load_b64 v[2:3], v[2:3], off
	s_wait_loadcnt 0x0
	global_store_b64 v[0:1], v[2:3], off
                                        ; implicit-def: $vgpr2_vgpr3
                                        ; implicit-def: $vgpr0
.LBB7_2:
	s_wait_xcnt 0x0
	s_and_not1_saveexec_b32 s9, s9
	s_cbranch_execz .LBB7_6
; %bb.3:
	s_mov_b32 s9, exec_lo
	v_cmpx_gt_u64_e64 s[4:5], v[2:3]
	s_cbranch_execz .LBB7_6
; %bb.4:
	v_dual_mov_b32 v1, 0 :: v_dual_lshlrev_b32 v0, 3, v0
	s_mov_b32 s9, s7
	s_delay_alu instid0(SALU_CYCLE_1)
	s_mul_u64 s[6:7], s[8:9], s[6:7]
	s_delay_alu instid0(VALU_DEP_1) | instid1(SALU_CYCLE_1)
	v_lshl_add_u64 v[4:5], s[6:7], 3, v[0:1]
	s_delay_alu instid0(VALU_DEP_1)
	v_add_nc_u64_e32 v[0:1], s[2:3], v[4:5]
	v_add_nc_u64_e32 v[4:5], s[0:1], v[4:5]
	s_mov_b32 s0, 0
.LBB7_5:                                ; =>This Inner Loop Header: Depth=1
	global_load_u16 v6, v[4:5], off
	v_add_nc_u64_e32 v[2:3], 1, v[2:3]
	s_wait_xcnt 0x0
	v_add_nc_u64_e32 v[4:5], 2, v[4:5]
	s_delay_alu instid0(VALU_DEP_2)
	v_cmp_le_u64_e32 vcc_lo, s[4:5], v[2:3]
	s_or_b32 s0, vcc_lo, s0
	s_wait_loadcnt 0x0
	global_store_b16 v[0:1], v6, off
	s_wait_xcnt 0x0
	v_add_nc_u64_e32 v[0:1], 2, v[0:1]
	s_and_not1_b32 exec_lo, exec_lo, s0
	s_cbranch_execnz .LBB7_5
.LBB7_6:
	s_endpgm
	.section	.rodata,"a",@progbits
	.p2align	6, 0x0
	.amdhsa_kernel _Z19threads_copy_kernelIsLi4EEvPKT_PS0_m
		.amdhsa_group_segment_fixed_size 0
		.amdhsa_private_segment_fixed_size 0
		.amdhsa_kernarg_size 280
		.amdhsa_user_sgpr_count 2
		.amdhsa_user_sgpr_dispatch_ptr 0
		.amdhsa_user_sgpr_queue_ptr 0
		.amdhsa_user_sgpr_kernarg_segment_ptr 1
		.amdhsa_user_sgpr_dispatch_id 0
		.amdhsa_user_sgpr_kernarg_preload_length 0
		.amdhsa_user_sgpr_kernarg_preload_offset 0
		.amdhsa_user_sgpr_private_segment_size 0
		.amdhsa_wavefront_size32 1
		.amdhsa_uses_dynamic_stack 0
		.amdhsa_enable_private_segment 0
		.amdhsa_system_sgpr_workgroup_id_x 1
		.amdhsa_system_sgpr_workgroup_id_y 0
		.amdhsa_system_sgpr_workgroup_id_z 0
		.amdhsa_system_sgpr_workgroup_info 0
		.amdhsa_system_vgpr_workitem_id 0
		.amdhsa_next_free_vgpr 7
		.amdhsa_next_free_sgpr 10
		.amdhsa_named_barrier_count 0
		.amdhsa_reserve_vcc 1
		.amdhsa_float_round_mode_32 0
		.amdhsa_float_round_mode_16_64 0
		.amdhsa_float_denorm_mode_32 3
		.amdhsa_float_denorm_mode_16_64 3
		.amdhsa_fp16_overflow 0
		.amdhsa_memory_ordered 1
		.amdhsa_forward_progress 1
		.amdhsa_inst_pref_size 3
		.amdhsa_round_robin_scheduling 0
		.amdhsa_exception_fp_ieee_invalid_op 0
		.amdhsa_exception_fp_denorm_src 0
		.amdhsa_exception_fp_ieee_div_zero 0
		.amdhsa_exception_fp_ieee_overflow 0
		.amdhsa_exception_fp_ieee_underflow 0
		.amdhsa_exception_fp_ieee_inexact 0
		.amdhsa_exception_int_div_zero 0
	.end_amdhsa_kernel
	.section	.text._Z19threads_copy_kernelIsLi4EEvPKT_PS0_m,"axG",@progbits,_Z19threads_copy_kernelIsLi4EEvPKT_PS0_m,comdat
.Lfunc_end7:
	.size	_Z19threads_copy_kernelIsLi4EEvPKT_PS0_m, .Lfunc_end7-_Z19threads_copy_kernelIsLi4EEvPKT_PS0_m
                                        ; -- End function
	.set _Z19threads_copy_kernelIsLi4EEvPKT_PS0_m.num_vgpr, 7
	.set _Z19threads_copy_kernelIsLi4EEvPKT_PS0_m.num_agpr, 0
	.set _Z19threads_copy_kernelIsLi4EEvPKT_PS0_m.numbered_sgpr, 10
	.set _Z19threads_copy_kernelIsLi4EEvPKT_PS0_m.num_named_barrier, 0
	.set _Z19threads_copy_kernelIsLi4EEvPKT_PS0_m.private_seg_size, 0
	.set _Z19threads_copy_kernelIsLi4EEvPKT_PS0_m.uses_vcc, 1
	.set _Z19threads_copy_kernelIsLi4EEvPKT_PS0_m.uses_flat_scratch, 0
	.set _Z19threads_copy_kernelIsLi4EEvPKT_PS0_m.has_dyn_sized_stack, 0
	.set _Z19threads_copy_kernelIsLi4EEvPKT_PS0_m.has_recursion, 0
	.set _Z19threads_copy_kernelIsLi4EEvPKT_PS0_m.has_indirect_call, 0
	.section	.AMDGPU.csdata,"",@progbits
; Kernel info:
; codeLenInByte = 340
; TotalNumSgprs: 12
; NumVgprs: 7
; ScratchSize: 0
; MemoryBound: 0
; FloatMode: 240
; IeeeMode: 1
; LDSByteSize: 0 bytes/workgroup (compile time only)
; SGPRBlocks: 0
; VGPRBlocks: 0
; NumSGPRsForWavesPerEU: 12
; NumVGPRsForWavesPerEU: 7
; NamedBarCnt: 0
; Occupancy: 16
; WaveLimiterHint : 0
; COMPUTE_PGM_RSRC2:SCRATCH_EN: 0
; COMPUTE_PGM_RSRC2:USER_SGPR: 2
; COMPUTE_PGM_RSRC2:TRAP_HANDLER: 0
; COMPUTE_PGM_RSRC2:TGID_X_EN: 1
; COMPUTE_PGM_RSRC2:TGID_Y_EN: 0
; COMPUTE_PGM_RSRC2:TGID_Z_EN: 0
; COMPUTE_PGM_RSRC2:TIDIG_COMP_CNT: 0
	.section	.text._Z19threads_copy_kernelIsLi8EEvPKT_PS0_m,"axG",@progbits,_Z19threads_copy_kernelIsLi8EEvPKT_PS0_m,comdat
	.protected	_Z19threads_copy_kernelIsLi8EEvPKT_PS0_m ; -- Begin function _Z19threads_copy_kernelIsLi8EEvPKT_PS0_m
	.globl	_Z19threads_copy_kernelIsLi8EEvPKT_PS0_m
	.p2align	8
	.type	_Z19threads_copy_kernelIsLi8EEvPKT_PS0_m,@function
_Z19threads_copy_kernelIsLi8EEvPKT_PS0_m: ; @_Z19threads_copy_kernelIsLi8EEvPKT_PS0_m
; %bb.0:
	s_load_b32 s2, s[0:1], 0x24
	s_bfe_u32 s3, ttmp6, 0x4000c
	s_and_b32 s4, ttmp6, 15
	s_add_co_i32 s3, s3, 1
	s_getreg_b32 s5, hwreg(HW_REG_IB_STS2, 6, 4)
	s_mul_i32 s3, ttmp9, s3
	v_dual_mov_b32 v3, 0 :: v_dual_lshlrev_b32 v2, 3, v0
	s_add_co_i32 s4, s4, s3
	s_mov_b32 s7, 0
	s_mov_b32 s9, exec_lo
	s_wait_kmcnt 0x0
	s_and_b32 s6, s2, 0xffff
	s_cmp_eq_u32 s5, 0
	s_cselect_b32 s8, ttmp9, s4
	s_load_b64 s[4:5], s[0:1], 0x10
	s_lshl_b32 s2, s8, 3
	s_delay_alu instid0(SALU_CYCLE_1)
	v_mad_nc_u64_u32 v[2:3], s2, s6, v[2:3]
	s_lshr_b32 s2, s8, 29
	s_delay_alu instid0(VALU_DEP_1) | instid1(SALU_CYCLE_1)
	v_mad_u32 v3, s2, s6, v3
	s_wait_xcnt 0x0
	s_load_b128 s[0:3], s[0:1], 0x0
	s_wait_kmcnt 0x0
	s_delay_alu instid0(VALU_DEP_1) | instskip(NEXT) | instid1(VALU_DEP_1)
	v_sub_nc_u64_e32 v[4:5], s[4:5], v[2:3]
	v_cmpx_lt_u64_e32 7, v[4:5]
	s_xor_b32 s9, exec_lo, s9
	s_cbranch_execz .LBB8_2
; %bb.1:
	v_lshlrev_b64_e32 v[4:5], 1, v[2:3]
	s_delay_alu instid0(VALU_DEP_1)
	v_add_nc_u64_e32 v[0:1], s[0:1], v[4:5]
	v_add_nc_u64_e32 v[4:5], s[2:3], v[4:5]
	global_load_b128 v[0:3], v[0:1], off
	s_wait_loadcnt 0x0
	global_store_b128 v[4:5], v[0:3], off
                                        ; implicit-def: $vgpr2_vgpr3
                                        ; implicit-def: $vgpr0
.LBB8_2:
	s_wait_xcnt 0x0
	s_and_not1_saveexec_b32 s9, s9
	s_cbranch_execz .LBB8_6
; %bb.3:
	s_mov_b32 s9, exec_lo
	v_cmpx_gt_u64_e64 s[4:5], v[2:3]
	s_cbranch_execz .LBB8_6
; %bb.4:
	v_dual_mov_b32 v1, 0 :: v_dual_lshlrev_b32 v0, 4, v0
	s_mov_b32 s9, s7
	s_delay_alu instid0(SALU_CYCLE_1)
	s_mul_u64 s[6:7], s[8:9], s[6:7]
	s_delay_alu instid0(VALU_DEP_1) | instid1(SALU_CYCLE_1)
	v_lshl_add_u64 v[4:5], s[6:7], 4, v[0:1]
	s_delay_alu instid0(VALU_DEP_1)
	v_add_nc_u64_e32 v[0:1], s[2:3], v[4:5]
	v_add_nc_u64_e32 v[4:5], s[0:1], v[4:5]
	s_mov_b32 s0, 0
.LBB8_5:                                ; =>This Inner Loop Header: Depth=1
	global_load_u16 v6, v[4:5], off
	v_add_nc_u64_e32 v[2:3], 1, v[2:3]
	s_wait_xcnt 0x0
	v_add_nc_u64_e32 v[4:5], 2, v[4:5]
	s_delay_alu instid0(VALU_DEP_2)
	v_cmp_le_u64_e32 vcc_lo, s[4:5], v[2:3]
	s_or_b32 s0, vcc_lo, s0
	s_wait_loadcnt 0x0
	global_store_b16 v[0:1], v6, off
	s_wait_xcnt 0x0
	v_add_nc_u64_e32 v[0:1], 2, v[0:1]
	s_and_not1_b32 exec_lo, exec_lo, s0
	s_cbranch_execnz .LBB8_5
.LBB8_6:
	s_endpgm
	.section	.rodata,"a",@progbits
	.p2align	6, 0x0
	.amdhsa_kernel _Z19threads_copy_kernelIsLi8EEvPKT_PS0_m
		.amdhsa_group_segment_fixed_size 0
		.amdhsa_private_segment_fixed_size 0
		.amdhsa_kernarg_size 280
		.amdhsa_user_sgpr_count 2
		.amdhsa_user_sgpr_dispatch_ptr 0
		.amdhsa_user_sgpr_queue_ptr 0
		.amdhsa_user_sgpr_kernarg_segment_ptr 1
		.amdhsa_user_sgpr_dispatch_id 0
		.amdhsa_user_sgpr_kernarg_preload_length 0
		.amdhsa_user_sgpr_kernarg_preload_offset 0
		.amdhsa_user_sgpr_private_segment_size 0
		.amdhsa_wavefront_size32 1
		.amdhsa_uses_dynamic_stack 0
		.amdhsa_enable_private_segment 0
		.amdhsa_system_sgpr_workgroup_id_x 1
		.amdhsa_system_sgpr_workgroup_id_y 0
		.amdhsa_system_sgpr_workgroup_id_z 0
		.amdhsa_system_sgpr_workgroup_info 0
		.amdhsa_system_vgpr_workitem_id 0
		.amdhsa_next_free_vgpr 7
		.amdhsa_next_free_sgpr 10
		.amdhsa_named_barrier_count 0
		.amdhsa_reserve_vcc 1
		.amdhsa_float_round_mode_32 0
		.amdhsa_float_round_mode_16_64 0
		.amdhsa_float_denorm_mode_32 3
		.amdhsa_float_denorm_mode_16_64 3
		.amdhsa_fp16_overflow 0
		.amdhsa_memory_ordered 1
		.amdhsa_forward_progress 1
		.amdhsa_inst_pref_size 3
		.amdhsa_round_robin_scheduling 0
		.amdhsa_exception_fp_ieee_invalid_op 0
		.amdhsa_exception_fp_denorm_src 0
		.amdhsa_exception_fp_ieee_div_zero 0
		.amdhsa_exception_fp_ieee_overflow 0
		.amdhsa_exception_fp_ieee_underflow 0
		.amdhsa_exception_fp_ieee_inexact 0
		.amdhsa_exception_int_div_zero 0
	.end_amdhsa_kernel
	.section	.text._Z19threads_copy_kernelIsLi8EEvPKT_PS0_m,"axG",@progbits,_Z19threads_copy_kernelIsLi8EEvPKT_PS0_m,comdat
.Lfunc_end8:
	.size	_Z19threads_copy_kernelIsLi8EEvPKT_PS0_m, .Lfunc_end8-_Z19threads_copy_kernelIsLi8EEvPKT_PS0_m
                                        ; -- End function
	.set _Z19threads_copy_kernelIsLi8EEvPKT_PS0_m.num_vgpr, 7
	.set _Z19threads_copy_kernelIsLi8EEvPKT_PS0_m.num_agpr, 0
	.set _Z19threads_copy_kernelIsLi8EEvPKT_PS0_m.numbered_sgpr, 10
	.set _Z19threads_copy_kernelIsLi8EEvPKT_PS0_m.num_named_barrier, 0
	.set _Z19threads_copy_kernelIsLi8EEvPKT_PS0_m.private_seg_size, 0
	.set _Z19threads_copy_kernelIsLi8EEvPKT_PS0_m.uses_vcc, 1
	.set _Z19threads_copy_kernelIsLi8EEvPKT_PS0_m.uses_flat_scratch, 0
	.set _Z19threads_copy_kernelIsLi8EEvPKT_PS0_m.has_dyn_sized_stack, 0
	.set _Z19threads_copy_kernelIsLi8EEvPKT_PS0_m.has_recursion, 0
	.set _Z19threads_copy_kernelIsLi8EEvPKT_PS0_m.has_indirect_call, 0
	.section	.AMDGPU.csdata,"",@progbits
; Kernel info:
; codeLenInByte = 340
; TotalNumSgprs: 12
; NumVgprs: 7
; ScratchSize: 0
; MemoryBound: 0
; FloatMode: 240
; IeeeMode: 1
; LDSByteSize: 0 bytes/workgroup (compile time only)
; SGPRBlocks: 0
; VGPRBlocks: 0
; NumSGPRsForWavesPerEU: 12
; NumVGPRsForWavesPerEU: 7
; NamedBarCnt: 0
; Occupancy: 16
; WaveLimiterHint : 0
; COMPUTE_PGM_RSRC2:SCRATCH_EN: 0
; COMPUTE_PGM_RSRC2:USER_SGPR: 2
; COMPUTE_PGM_RSRC2:TRAP_HANDLER: 0
; COMPUTE_PGM_RSRC2:TGID_X_EN: 1
; COMPUTE_PGM_RSRC2:TGID_Y_EN: 0
; COMPUTE_PGM_RSRC2:TGID_Z_EN: 0
; COMPUTE_PGM_RSRC2:TIDIG_COMP_CNT: 0
	.section	.text._Z19threads_copy_kernelIsLi16EEvPKT_PS0_m,"axG",@progbits,_Z19threads_copy_kernelIsLi16EEvPKT_PS0_m,comdat
	.protected	_Z19threads_copy_kernelIsLi16EEvPKT_PS0_m ; -- Begin function _Z19threads_copy_kernelIsLi16EEvPKT_PS0_m
	.globl	_Z19threads_copy_kernelIsLi16EEvPKT_PS0_m
	.p2align	8
	.type	_Z19threads_copy_kernelIsLi16EEvPKT_PS0_m,@function
_Z19threads_copy_kernelIsLi16EEvPKT_PS0_m: ; @_Z19threads_copy_kernelIsLi16EEvPKT_PS0_m
; %bb.0:
	s_load_b32 s2, s[0:1], 0x24
	s_bfe_u32 s3, ttmp6, 0x4000c
	s_and_b32 s4, ttmp6, 15
	s_add_co_i32 s3, s3, 1
	s_getreg_b32 s5, hwreg(HW_REG_IB_STS2, 6, 4)
	s_mul_i32 s3, ttmp9, s3
	v_dual_mov_b32 v3, 0 :: v_dual_lshlrev_b32 v2, 4, v0
	s_add_co_i32 s4, s4, s3
	s_mov_b32 s7, 0
	s_mov_b32 s9, exec_lo
	s_wait_kmcnt 0x0
	s_and_b32 s6, s2, 0xffff
	s_cmp_eq_u32 s5, 0
	s_cselect_b32 s8, ttmp9, s4
	s_load_b64 s[4:5], s[0:1], 0x10
	s_lshl_b32 s2, s8, 4
	s_delay_alu instid0(SALU_CYCLE_1)
	v_mad_nc_u64_u32 v[2:3], s2, s6, v[2:3]
	s_lshr_b32 s2, s8, 28
	s_delay_alu instid0(VALU_DEP_1) | instid1(SALU_CYCLE_1)
	v_mad_u32 v3, s2, s6, v3
	s_wait_xcnt 0x0
	s_load_b128 s[0:3], s[0:1], 0x0
	s_wait_kmcnt 0x0
	s_delay_alu instid0(VALU_DEP_1) | instskip(NEXT) | instid1(VALU_DEP_1)
	v_sub_nc_u64_e32 v[4:5], s[4:5], v[2:3]
	v_cmpx_lt_u64_e32 15, v[4:5]
	s_xor_b32 s9, exec_lo, s9
	s_cbranch_execz .LBB9_2
; %bb.1:
	v_lshlrev_b64_e32 v[4:5], 1, v[2:3]
	s_delay_alu instid0(VALU_DEP_1)
	v_add_nc_u64_e32 v[6:7], s[0:1], v[4:5]
	v_add_nc_u64_e32 v[4:5], s[2:3], v[4:5]
	global_load_b128 v[0:3], v[6:7], off offset:16
	s_wait_loadcnt 0x0
	global_store_b128 v[4:5], v[0:3], off offset:16
	global_load_b128 v[0:3], v[6:7], off
	s_wait_loadcnt 0x0
	global_store_b128 v[4:5], v[0:3], off
                                        ; implicit-def: $vgpr2_vgpr3
                                        ; implicit-def: $vgpr0
.LBB9_2:
	s_wait_xcnt 0x0
	s_and_not1_saveexec_b32 s9, s9
	s_cbranch_execz .LBB9_6
; %bb.3:
	s_mov_b32 s9, exec_lo
	v_cmpx_gt_u64_e64 s[4:5], v[2:3]
	s_cbranch_execz .LBB9_6
; %bb.4:
	s_mov_b32 s9, s7
	v_dual_mov_b32 v1, 0 :: v_dual_lshlrev_b32 v0, 5, v0
	s_mul_u64 s[6:7], s[8:9], s[6:7]
	s_delay_alu instid0(SALU_CYCLE_1)
	s_lshl_b64 s[6:7], s[6:7], 5
	s_delay_alu instid0(VALU_DEP_1) | instid1(SALU_CYCLE_1)
	v_add_nc_u64_e32 v[4:5], s[6:7], v[0:1]
	s_delay_alu instid0(VALU_DEP_1)
	v_add_nc_u64_e32 v[0:1], s[2:3], v[4:5]
	v_add_nc_u64_e32 v[4:5], s[0:1], v[4:5]
	s_mov_b32 s0, 0
.LBB9_5:                                ; =>This Inner Loop Header: Depth=1
	global_load_u16 v6, v[4:5], off
	v_add_nc_u64_e32 v[2:3], 1, v[2:3]
	s_wait_xcnt 0x0
	v_add_nc_u64_e32 v[4:5], 2, v[4:5]
	s_delay_alu instid0(VALU_DEP_2)
	v_cmp_le_u64_e32 vcc_lo, s[4:5], v[2:3]
	s_or_b32 s0, vcc_lo, s0
	s_wait_loadcnt 0x0
	global_store_b16 v[0:1], v6, off
	s_wait_xcnt 0x0
	v_add_nc_u64_e32 v[0:1], 2, v[0:1]
	s_and_not1_b32 exec_lo, exec_lo, s0
	s_cbranch_execnz .LBB9_5
.LBB9_6:
	s_endpgm
	.section	.rodata,"a",@progbits
	.p2align	6, 0x0
	.amdhsa_kernel _Z19threads_copy_kernelIsLi16EEvPKT_PS0_m
		.amdhsa_group_segment_fixed_size 0
		.amdhsa_private_segment_fixed_size 0
		.amdhsa_kernarg_size 280
		.amdhsa_user_sgpr_count 2
		.amdhsa_user_sgpr_dispatch_ptr 0
		.amdhsa_user_sgpr_queue_ptr 0
		.amdhsa_user_sgpr_kernarg_segment_ptr 1
		.amdhsa_user_sgpr_dispatch_id 0
		.amdhsa_user_sgpr_kernarg_preload_length 0
		.amdhsa_user_sgpr_kernarg_preload_offset 0
		.amdhsa_user_sgpr_private_segment_size 0
		.amdhsa_wavefront_size32 1
		.amdhsa_uses_dynamic_stack 0
		.amdhsa_enable_private_segment 0
		.amdhsa_system_sgpr_workgroup_id_x 1
		.amdhsa_system_sgpr_workgroup_id_y 0
		.amdhsa_system_sgpr_workgroup_id_z 0
		.amdhsa_system_sgpr_workgroup_info 0
		.amdhsa_system_vgpr_workitem_id 0
		.amdhsa_next_free_vgpr 8
		.amdhsa_next_free_sgpr 10
		.amdhsa_named_barrier_count 0
		.amdhsa_reserve_vcc 1
		.amdhsa_float_round_mode_32 0
		.amdhsa_float_round_mode_16_64 0
		.amdhsa_float_denorm_mode_32 3
		.amdhsa_float_denorm_mode_16_64 3
		.amdhsa_fp16_overflow 0
		.amdhsa_memory_ordered 1
		.amdhsa_forward_progress 1
		.amdhsa_inst_pref_size 3
		.amdhsa_round_robin_scheduling 0
		.amdhsa_exception_fp_ieee_invalid_op 0
		.amdhsa_exception_fp_denorm_src 0
		.amdhsa_exception_fp_ieee_div_zero 0
		.amdhsa_exception_fp_ieee_overflow 0
		.amdhsa_exception_fp_ieee_underflow 0
		.amdhsa_exception_fp_ieee_inexact 0
		.amdhsa_exception_int_div_zero 0
	.end_amdhsa_kernel
	.section	.text._Z19threads_copy_kernelIsLi16EEvPKT_PS0_m,"axG",@progbits,_Z19threads_copy_kernelIsLi16EEvPKT_PS0_m,comdat
.Lfunc_end9:
	.size	_Z19threads_copy_kernelIsLi16EEvPKT_PS0_m, .Lfunc_end9-_Z19threads_copy_kernelIsLi16EEvPKT_PS0_m
                                        ; -- End function
	.set _Z19threads_copy_kernelIsLi16EEvPKT_PS0_m.num_vgpr, 8
	.set _Z19threads_copy_kernelIsLi16EEvPKT_PS0_m.num_agpr, 0
	.set _Z19threads_copy_kernelIsLi16EEvPKT_PS0_m.numbered_sgpr, 10
	.set _Z19threads_copy_kernelIsLi16EEvPKT_PS0_m.num_named_barrier, 0
	.set _Z19threads_copy_kernelIsLi16EEvPKT_PS0_m.private_seg_size, 0
	.set _Z19threads_copy_kernelIsLi16EEvPKT_PS0_m.uses_vcc, 1
	.set _Z19threads_copy_kernelIsLi16EEvPKT_PS0_m.uses_flat_scratch, 0
	.set _Z19threads_copy_kernelIsLi16EEvPKT_PS0_m.has_dyn_sized_stack, 0
	.set _Z19threads_copy_kernelIsLi16EEvPKT_PS0_m.has_recursion, 0
	.set _Z19threads_copy_kernelIsLi16EEvPKT_PS0_m.has_indirect_call, 0
	.section	.AMDGPU.csdata,"",@progbits
; Kernel info:
; codeLenInByte = 368
; TotalNumSgprs: 12
; NumVgprs: 8
; ScratchSize: 0
; MemoryBound: 0
; FloatMode: 240
; IeeeMode: 1
; LDSByteSize: 0 bytes/workgroup (compile time only)
; SGPRBlocks: 0
; VGPRBlocks: 0
; NumSGPRsForWavesPerEU: 12
; NumVGPRsForWavesPerEU: 8
; NamedBarCnt: 0
; Occupancy: 16
; WaveLimiterHint : 0
; COMPUTE_PGM_RSRC2:SCRATCH_EN: 0
; COMPUTE_PGM_RSRC2:USER_SGPR: 2
; COMPUTE_PGM_RSRC2:TRAP_HANDLER: 0
; COMPUTE_PGM_RSRC2:TGID_X_EN: 1
; COMPUTE_PGM_RSRC2:TGID_Y_EN: 0
; COMPUTE_PGM_RSRC2:TGID_Z_EN: 0
; COMPUTE_PGM_RSRC2:TIDIG_COMP_CNT: 0
	.section	.text._Z19threads_copy_kernelIcLi1EEvPKT_PS0_m,"axG",@progbits,_Z19threads_copy_kernelIcLi1EEvPKT_PS0_m,comdat
	.protected	_Z19threads_copy_kernelIcLi1EEvPKT_PS0_m ; -- Begin function _Z19threads_copy_kernelIcLi1EEvPKT_PS0_m
	.globl	_Z19threads_copy_kernelIcLi1EEvPKT_PS0_m
	.p2align	8
	.type	_Z19threads_copy_kernelIcLi1EEvPKT_PS0_m,@function
_Z19threads_copy_kernelIcLi1EEvPKT_PS0_m: ; @_Z19threads_copy_kernelIcLi1EEvPKT_PS0_m
; %bb.0:
	s_clause 0x1
	s_load_b32 s4, s[0:1], 0x24
	s_load_b64 s[2:3], s[0:1], 0x10
	s_bfe_u32 s5, ttmp6, 0x4000c
	s_and_b32 s6, ttmp6, 15
	s_add_co_i32 s5, s5, 1
	s_getreg_b32 s7, hwreg(HW_REG_IB_STS2, 6, 4)
	s_mul_i32 s5, ttmp9, s5
	v_mov_b32_e32 v1, 0
	s_add_co_i32 s6, s6, s5
	s_wait_kmcnt 0x0
	s_and_b32 s4, s4, 0xffff
	s_cmp_eq_u32 s7, 0
	s_cselect_b32 s5, ttmp9, s6
	s_delay_alu instid0(SALU_CYCLE_1) | instskip(NEXT) | instid1(VALU_DEP_1)
	v_mad_nc_u64_u32 v[0:1], s4, s5, v[0:1]
	v_cmp_ne_u64_e32 vcc_lo, s[2:3], v[0:1]
	s_and_saveexec_b32 s2, vcc_lo
	s_cbranch_execz .LBB10_2
; %bb.1:
	s_load_b128 s[0:3], s[0:1], 0x0
	s_wait_kmcnt 0x0
	v_add_nc_u64_e32 v[2:3], s[0:1], v[0:1]
	v_add_nc_u64_e32 v[0:1], s[2:3], v[0:1]
	global_load_u8 v2, v[2:3], off
	s_wait_loadcnt 0x0
	global_store_b8 v[0:1], v2, off
.LBB10_2:
	s_endpgm
	.section	.rodata,"a",@progbits
	.p2align	6, 0x0
	.amdhsa_kernel _Z19threads_copy_kernelIcLi1EEvPKT_PS0_m
		.amdhsa_group_segment_fixed_size 0
		.amdhsa_private_segment_fixed_size 0
		.amdhsa_kernarg_size 280
		.amdhsa_user_sgpr_count 2
		.amdhsa_user_sgpr_dispatch_ptr 0
		.amdhsa_user_sgpr_queue_ptr 0
		.amdhsa_user_sgpr_kernarg_segment_ptr 1
		.amdhsa_user_sgpr_dispatch_id 0
		.amdhsa_user_sgpr_kernarg_preload_length 0
		.amdhsa_user_sgpr_kernarg_preload_offset 0
		.amdhsa_user_sgpr_private_segment_size 0
		.amdhsa_wavefront_size32 1
		.amdhsa_uses_dynamic_stack 0
		.amdhsa_enable_private_segment 0
		.amdhsa_system_sgpr_workgroup_id_x 1
		.amdhsa_system_sgpr_workgroup_id_y 0
		.amdhsa_system_sgpr_workgroup_id_z 0
		.amdhsa_system_sgpr_workgroup_info 0
		.amdhsa_system_vgpr_workitem_id 0
		.amdhsa_next_free_vgpr 4
		.amdhsa_next_free_sgpr 8
		.amdhsa_named_barrier_count 0
		.amdhsa_reserve_vcc 1
		.amdhsa_float_round_mode_32 0
		.amdhsa_float_round_mode_16_64 0
		.amdhsa_float_denorm_mode_32 3
		.amdhsa_float_denorm_mode_16_64 3
		.amdhsa_fp16_overflow 0
		.amdhsa_memory_ordered 1
		.amdhsa_forward_progress 1
		.amdhsa_inst_pref_size 2
		.amdhsa_round_robin_scheduling 0
		.amdhsa_exception_fp_ieee_invalid_op 0
		.amdhsa_exception_fp_denorm_src 0
		.amdhsa_exception_fp_ieee_div_zero 0
		.amdhsa_exception_fp_ieee_overflow 0
		.amdhsa_exception_fp_ieee_underflow 0
		.amdhsa_exception_fp_ieee_inexact 0
		.amdhsa_exception_int_div_zero 0
	.end_amdhsa_kernel
	.section	.text._Z19threads_copy_kernelIcLi1EEvPKT_PS0_m,"axG",@progbits,_Z19threads_copy_kernelIcLi1EEvPKT_PS0_m,comdat
.Lfunc_end10:
	.size	_Z19threads_copy_kernelIcLi1EEvPKT_PS0_m, .Lfunc_end10-_Z19threads_copy_kernelIcLi1EEvPKT_PS0_m
                                        ; -- End function
	.set _Z19threads_copy_kernelIcLi1EEvPKT_PS0_m.num_vgpr, 4
	.set _Z19threads_copy_kernelIcLi1EEvPKT_PS0_m.num_agpr, 0
	.set _Z19threads_copy_kernelIcLi1EEvPKT_PS0_m.numbered_sgpr, 8
	.set _Z19threads_copy_kernelIcLi1EEvPKT_PS0_m.num_named_barrier, 0
	.set _Z19threads_copy_kernelIcLi1EEvPKT_PS0_m.private_seg_size, 0
	.set _Z19threads_copy_kernelIcLi1EEvPKT_PS0_m.uses_vcc, 1
	.set _Z19threads_copy_kernelIcLi1EEvPKT_PS0_m.uses_flat_scratch, 0
	.set _Z19threads_copy_kernelIcLi1EEvPKT_PS0_m.has_dyn_sized_stack, 0
	.set _Z19threads_copy_kernelIcLi1EEvPKT_PS0_m.has_recursion, 0
	.set _Z19threads_copy_kernelIcLi1EEvPKT_PS0_m.has_indirect_call, 0
	.section	.AMDGPU.csdata,"",@progbits
; Kernel info:
; codeLenInByte = 148
; TotalNumSgprs: 10
; NumVgprs: 4
; ScratchSize: 0
; MemoryBound: 0
; FloatMode: 240
; IeeeMode: 1
; LDSByteSize: 0 bytes/workgroup (compile time only)
; SGPRBlocks: 0
; VGPRBlocks: 0
; NumSGPRsForWavesPerEU: 10
; NumVGPRsForWavesPerEU: 4
; NamedBarCnt: 0
; Occupancy: 16
; WaveLimiterHint : 0
; COMPUTE_PGM_RSRC2:SCRATCH_EN: 0
; COMPUTE_PGM_RSRC2:USER_SGPR: 2
; COMPUTE_PGM_RSRC2:TRAP_HANDLER: 0
; COMPUTE_PGM_RSRC2:TGID_X_EN: 1
; COMPUTE_PGM_RSRC2:TGID_Y_EN: 0
; COMPUTE_PGM_RSRC2:TGID_Z_EN: 0
; COMPUTE_PGM_RSRC2:TIDIG_COMP_CNT: 0
	.section	.text._Z19threads_copy_kernelIcLi2EEvPKT_PS0_m,"axG",@progbits,_Z19threads_copy_kernelIcLi2EEvPKT_PS0_m,comdat
	.protected	_Z19threads_copy_kernelIcLi2EEvPKT_PS0_m ; -- Begin function _Z19threads_copy_kernelIcLi2EEvPKT_PS0_m
	.globl	_Z19threads_copy_kernelIcLi2EEvPKT_PS0_m
	.p2align	8
	.type	_Z19threads_copy_kernelIcLi2EEvPKT_PS0_m,@function
_Z19threads_copy_kernelIcLi2EEvPKT_PS0_m: ; @_Z19threads_copy_kernelIcLi2EEvPKT_PS0_m
; %bb.0:
	s_load_b32 s2, s[0:1], 0x24
	s_bfe_u32 s3, ttmp6, 0x4000c
	s_and_b32 s4, ttmp6, 15
	s_add_co_i32 s3, s3, 1
	s_getreg_b32 s5, hwreg(HW_REG_IB_STS2, 6, 4)
	s_mul_i32 s3, ttmp9, s3
	v_dual_mov_b32 v1, 0 :: v_dual_lshlrev_b32 v0, 1, v0
	s_add_co_i32 s4, s4, s3
	s_mov_b32 s6, exec_lo
	s_wait_kmcnt 0x0
	s_and_b32 s2, s2, 0xffff
	s_cmp_eq_u32 s5, 0
	s_cselect_b32 s3, ttmp9, s4
	s_delay_alu instid0(SALU_CYCLE_1) | instskip(SKIP_3) | instid1(VALU_DEP_1)
	s_lshl_b32 s4, s3, 1
	s_lshr_b32 s3, s3, 31
	v_mad_nc_u64_u32 v[0:1], s4, s2, v[0:1]
	s_load_b64 s[4:5], s[0:1], 0x10
	v_mad_u32 v1, s3, s2, v1
	s_wait_xcnt 0x0
	s_load_b128 s[0:3], s[0:1], 0x0
	s_wait_kmcnt 0x0
	s_delay_alu instid0(VALU_DEP_1) | instskip(NEXT) | instid1(VALU_DEP_1)
	v_sub_nc_u64_e32 v[2:3], s[4:5], v[0:1]
	v_cmpx_lt_u64_e32 1, v[2:3]
	s_xor_b32 s6, exec_lo, s6
	s_cbranch_execz .LBB11_2
; %bb.1:
	v_add_nc_u64_e32 v[2:3], s[0:1], v[0:1]
	v_add_nc_u64_e32 v[0:1], s[2:3], v[0:1]
	global_load_u16 v2, v[2:3], off
	s_wait_loadcnt 0x0
	global_store_b16 v[0:1], v2, off
                                        ; implicit-def: $vgpr0_vgpr1
.LBB11_2:
	s_wait_xcnt 0x0
	s_and_not1_saveexec_b32 s6, s6
	s_cbranch_execz .LBB11_6
; %bb.3:
	s_mov_b32 s6, exec_lo
	v_cmpx_gt_u64_e64 s[4:5], v[0:1]
	s_cbranch_execz .LBB11_6
; %bb.4:
	s_mov_b32 s6, 0
.LBB11_5:                               ; =>This Inner Loop Header: Depth=1
	v_add_nc_u64_e32 v[2:3], s[0:1], v[0:1]
	global_load_u8 v4, v[2:3], off
	s_wait_xcnt 0x0
	v_add_nc_u64_e32 v[2:3], s[2:3], v[0:1]
	v_add_nc_u64_e32 v[0:1], 1, v[0:1]
	s_delay_alu instid0(VALU_DEP_1)
	v_cmp_le_u64_e32 vcc_lo, s[4:5], v[0:1]
	s_or_b32 s6, vcc_lo, s6
	s_wait_loadcnt 0x0
	global_store_b8 v[2:3], v4, off
	s_wait_xcnt 0x0
	s_and_not1_b32 exec_lo, exec_lo, s6
	s_cbranch_execnz .LBB11_5
.LBB11_6:
	s_endpgm
	.section	.rodata,"a",@progbits
	.p2align	6, 0x0
	.amdhsa_kernel _Z19threads_copy_kernelIcLi2EEvPKT_PS0_m
		.amdhsa_group_segment_fixed_size 0
		.amdhsa_private_segment_fixed_size 0
		.amdhsa_kernarg_size 280
		.amdhsa_user_sgpr_count 2
		.amdhsa_user_sgpr_dispatch_ptr 0
		.amdhsa_user_sgpr_queue_ptr 0
		.amdhsa_user_sgpr_kernarg_segment_ptr 1
		.amdhsa_user_sgpr_dispatch_id 0
		.amdhsa_user_sgpr_kernarg_preload_length 0
		.amdhsa_user_sgpr_kernarg_preload_offset 0
		.amdhsa_user_sgpr_private_segment_size 0
		.amdhsa_wavefront_size32 1
		.amdhsa_uses_dynamic_stack 0
		.amdhsa_enable_private_segment 0
		.amdhsa_system_sgpr_workgroup_id_x 1
		.amdhsa_system_sgpr_workgroup_id_y 0
		.amdhsa_system_sgpr_workgroup_id_z 0
		.amdhsa_system_sgpr_workgroup_info 0
		.amdhsa_system_vgpr_workitem_id 0
		.amdhsa_next_free_vgpr 5
		.amdhsa_next_free_sgpr 7
		.amdhsa_named_barrier_count 0
		.amdhsa_reserve_vcc 1
		.amdhsa_float_round_mode_32 0
		.amdhsa_float_round_mode_16_64 0
		.amdhsa_float_denorm_mode_32 3
		.amdhsa_float_denorm_mode_16_64 3
		.amdhsa_fp16_overflow 0
		.amdhsa_memory_ordered 1
		.amdhsa_forward_progress 1
		.amdhsa_inst_pref_size 3
		.amdhsa_round_robin_scheduling 0
		.amdhsa_exception_fp_ieee_invalid_op 0
		.amdhsa_exception_fp_denorm_src 0
		.amdhsa_exception_fp_ieee_div_zero 0
		.amdhsa_exception_fp_ieee_overflow 0
		.amdhsa_exception_fp_ieee_underflow 0
		.amdhsa_exception_fp_ieee_inexact 0
		.amdhsa_exception_int_div_zero 0
	.end_amdhsa_kernel
	.section	.text._Z19threads_copy_kernelIcLi2EEvPKT_PS0_m,"axG",@progbits,_Z19threads_copy_kernelIcLi2EEvPKT_PS0_m,comdat
.Lfunc_end11:
	.size	_Z19threads_copy_kernelIcLi2EEvPKT_PS0_m, .Lfunc_end11-_Z19threads_copy_kernelIcLi2EEvPKT_PS0_m
                                        ; -- End function
	.set _Z19threads_copy_kernelIcLi2EEvPKT_PS0_m.num_vgpr, 5
	.set _Z19threads_copy_kernelIcLi2EEvPKT_PS0_m.num_agpr, 0
	.set _Z19threads_copy_kernelIcLi2EEvPKT_PS0_m.numbered_sgpr, 7
	.set _Z19threads_copy_kernelIcLi2EEvPKT_PS0_m.num_named_barrier, 0
	.set _Z19threads_copy_kernelIcLi2EEvPKT_PS0_m.private_seg_size, 0
	.set _Z19threads_copy_kernelIcLi2EEvPKT_PS0_m.uses_vcc, 1
	.set _Z19threads_copy_kernelIcLi2EEvPKT_PS0_m.uses_flat_scratch, 0
	.set _Z19threads_copy_kernelIcLi2EEvPKT_PS0_m.has_dyn_sized_stack, 0
	.set _Z19threads_copy_kernelIcLi2EEvPKT_PS0_m.has_recursion, 0
	.set _Z19threads_copy_kernelIcLi2EEvPKT_PS0_m.has_indirect_call, 0
	.section	.AMDGPU.csdata,"",@progbits
; Kernel info:
; codeLenInByte = 280
; TotalNumSgprs: 9
; NumVgprs: 5
; ScratchSize: 0
; MemoryBound: 0
; FloatMode: 240
; IeeeMode: 1
; LDSByteSize: 0 bytes/workgroup (compile time only)
; SGPRBlocks: 0
; VGPRBlocks: 0
; NumSGPRsForWavesPerEU: 9
; NumVGPRsForWavesPerEU: 5
; NamedBarCnt: 0
; Occupancy: 16
; WaveLimiterHint : 0
; COMPUTE_PGM_RSRC2:SCRATCH_EN: 0
; COMPUTE_PGM_RSRC2:USER_SGPR: 2
; COMPUTE_PGM_RSRC2:TRAP_HANDLER: 0
; COMPUTE_PGM_RSRC2:TGID_X_EN: 1
; COMPUTE_PGM_RSRC2:TGID_Y_EN: 0
; COMPUTE_PGM_RSRC2:TGID_Z_EN: 0
; COMPUTE_PGM_RSRC2:TIDIG_COMP_CNT: 0
	.section	.text._Z19threads_copy_kernelIcLi4EEvPKT_PS0_m,"axG",@progbits,_Z19threads_copy_kernelIcLi4EEvPKT_PS0_m,comdat
	.protected	_Z19threads_copy_kernelIcLi4EEvPKT_PS0_m ; -- Begin function _Z19threads_copy_kernelIcLi4EEvPKT_PS0_m
	.globl	_Z19threads_copy_kernelIcLi4EEvPKT_PS0_m
	.p2align	8
	.type	_Z19threads_copy_kernelIcLi4EEvPKT_PS0_m,@function
_Z19threads_copy_kernelIcLi4EEvPKT_PS0_m: ; @_Z19threads_copy_kernelIcLi4EEvPKT_PS0_m
; %bb.0:
	s_load_b32 s2, s[0:1], 0x24
	s_bfe_u32 s3, ttmp6, 0x4000c
	s_and_b32 s4, ttmp6, 15
	s_add_co_i32 s3, s3, 1
	s_getreg_b32 s5, hwreg(HW_REG_IB_STS2, 6, 4)
	s_mul_i32 s3, ttmp9, s3
	v_dual_mov_b32 v1, 0 :: v_dual_lshlrev_b32 v0, 2, v0
	s_add_co_i32 s4, s4, s3
	s_mov_b32 s6, exec_lo
	s_wait_kmcnt 0x0
	s_and_b32 s2, s2, 0xffff
	s_cmp_eq_u32 s5, 0
	s_cselect_b32 s3, ttmp9, s4
	s_delay_alu instid0(SALU_CYCLE_1) | instskip(SKIP_3) | instid1(VALU_DEP_1)
	s_lshl_b32 s4, s3, 2
	s_lshr_b32 s3, s3, 30
	v_mad_nc_u64_u32 v[0:1], s4, s2, v[0:1]
	s_load_b64 s[4:5], s[0:1], 0x10
	v_mad_u32 v1, s3, s2, v1
	s_wait_xcnt 0x0
	s_load_b128 s[0:3], s[0:1], 0x0
	s_wait_kmcnt 0x0
	s_delay_alu instid0(VALU_DEP_1) | instskip(NEXT) | instid1(VALU_DEP_1)
	v_sub_nc_u64_e32 v[2:3], s[4:5], v[0:1]
	v_cmpx_lt_u64_e32 3, v[2:3]
	s_xor_b32 s6, exec_lo, s6
	s_cbranch_execz .LBB12_2
; %bb.1:
	v_add_nc_u64_e32 v[2:3], s[0:1], v[0:1]
	v_add_nc_u64_e32 v[0:1], s[2:3], v[0:1]
	global_load_b32 v2, v[2:3], off
	s_wait_loadcnt 0x0
	global_store_b32 v[0:1], v2, off
                                        ; implicit-def: $vgpr0_vgpr1
.LBB12_2:
	s_wait_xcnt 0x0
	s_and_not1_saveexec_b32 s6, s6
	s_cbranch_execz .LBB12_6
; %bb.3:
	s_mov_b32 s6, exec_lo
	v_cmpx_gt_u64_e64 s[4:5], v[0:1]
	s_cbranch_execz .LBB12_6
; %bb.4:
	s_mov_b32 s6, 0
.LBB12_5:                               ; =>This Inner Loop Header: Depth=1
	v_add_nc_u64_e32 v[2:3], s[0:1], v[0:1]
	global_load_u8 v4, v[2:3], off
	s_wait_xcnt 0x0
	v_add_nc_u64_e32 v[2:3], s[2:3], v[0:1]
	v_add_nc_u64_e32 v[0:1], 1, v[0:1]
	s_delay_alu instid0(VALU_DEP_1)
	v_cmp_le_u64_e32 vcc_lo, s[4:5], v[0:1]
	s_or_b32 s6, vcc_lo, s6
	s_wait_loadcnt 0x0
	global_store_b8 v[2:3], v4, off
	s_wait_xcnt 0x0
	s_and_not1_b32 exec_lo, exec_lo, s6
	s_cbranch_execnz .LBB12_5
.LBB12_6:
	s_endpgm
	.section	.rodata,"a",@progbits
	.p2align	6, 0x0
	.amdhsa_kernel _Z19threads_copy_kernelIcLi4EEvPKT_PS0_m
		.amdhsa_group_segment_fixed_size 0
		.amdhsa_private_segment_fixed_size 0
		.amdhsa_kernarg_size 280
		.amdhsa_user_sgpr_count 2
		.amdhsa_user_sgpr_dispatch_ptr 0
		.amdhsa_user_sgpr_queue_ptr 0
		.amdhsa_user_sgpr_kernarg_segment_ptr 1
		.amdhsa_user_sgpr_dispatch_id 0
		.amdhsa_user_sgpr_kernarg_preload_length 0
		.amdhsa_user_sgpr_kernarg_preload_offset 0
		.amdhsa_user_sgpr_private_segment_size 0
		.amdhsa_wavefront_size32 1
		.amdhsa_uses_dynamic_stack 0
		.amdhsa_enable_private_segment 0
		.amdhsa_system_sgpr_workgroup_id_x 1
		.amdhsa_system_sgpr_workgroup_id_y 0
		.amdhsa_system_sgpr_workgroup_id_z 0
		.amdhsa_system_sgpr_workgroup_info 0
		.amdhsa_system_vgpr_workitem_id 0
		.amdhsa_next_free_vgpr 5
		.amdhsa_next_free_sgpr 7
		.amdhsa_named_barrier_count 0
		.amdhsa_reserve_vcc 1
		.amdhsa_float_round_mode_32 0
		.amdhsa_float_round_mode_16_64 0
		.amdhsa_float_denorm_mode_32 3
		.amdhsa_float_denorm_mode_16_64 3
		.amdhsa_fp16_overflow 0
		.amdhsa_memory_ordered 1
		.amdhsa_forward_progress 1
		.amdhsa_inst_pref_size 3
		.amdhsa_round_robin_scheduling 0
		.amdhsa_exception_fp_ieee_invalid_op 0
		.amdhsa_exception_fp_denorm_src 0
		.amdhsa_exception_fp_ieee_div_zero 0
		.amdhsa_exception_fp_ieee_overflow 0
		.amdhsa_exception_fp_ieee_underflow 0
		.amdhsa_exception_fp_ieee_inexact 0
		.amdhsa_exception_int_div_zero 0
	.end_amdhsa_kernel
	.section	.text._Z19threads_copy_kernelIcLi4EEvPKT_PS0_m,"axG",@progbits,_Z19threads_copy_kernelIcLi4EEvPKT_PS0_m,comdat
.Lfunc_end12:
	.size	_Z19threads_copy_kernelIcLi4EEvPKT_PS0_m, .Lfunc_end12-_Z19threads_copy_kernelIcLi4EEvPKT_PS0_m
                                        ; -- End function
	.set _Z19threads_copy_kernelIcLi4EEvPKT_PS0_m.num_vgpr, 5
	.set _Z19threads_copy_kernelIcLi4EEvPKT_PS0_m.num_agpr, 0
	.set _Z19threads_copy_kernelIcLi4EEvPKT_PS0_m.numbered_sgpr, 7
	.set _Z19threads_copy_kernelIcLi4EEvPKT_PS0_m.num_named_barrier, 0
	.set _Z19threads_copy_kernelIcLi4EEvPKT_PS0_m.private_seg_size, 0
	.set _Z19threads_copy_kernelIcLi4EEvPKT_PS0_m.uses_vcc, 1
	.set _Z19threads_copy_kernelIcLi4EEvPKT_PS0_m.uses_flat_scratch, 0
	.set _Z19threads_copy_kernelIcLi4EEvPKT_PS0_m.has_dyn_sized_stack, 0
	.set _Z19threads_copy_kernelIcLi4EEvPKT_PS0_m.has_recursion, 0
	.set _Z19threads_copy_kernelIcLi4EEvPKT_PS0_m.has_indirect_call, 0
	.section	.AMDGPU.csdata,"",@progbits
; Kernel info:
; codeLenInByte = 280
; TotalNumSgprs: 9
; NumVgprs: 5
; ScratchSize: 0
; MemoryBound: 0
; FloatMode: 240
; IeeeMode: 1
; LDSByteSize: 0 bytes/workgroup (compile time only)
; SGPRBlocks: 0
; VGPRBlocks: 0
; NumSGPRsForWavesPerEU: 9
; NumVGPRsForWavesPerEU: 5
; NamedBarCnt: 0
; Occupancy: 16
; WaveLimiterHint : 0
; COMPUTE_PGM_RSRC2:SCRATCH_EN: 0
; COMPUTE_PGM_RSRC2:USER_SGPR: 2
; COMPUTE_PGM_RSRC2:TRAP_HANDLER: 0
; COMPUTE_PGM_RSRC2:TGID_X_EN: 1
; COMPUTE_PGM_RSRC2:TGID_Y_EN: 0
; COMPUTE_PGM_RSRC2:TGID_Z_EN: 0
; COMPUTE_PGM_RSRC2:TIDIG_COMP_CNT: 0
	.section	.text._Z19threads_copy_kernelIcLi8EEvPKT_PS0_m,"axG",@progbits,_Z19threads_copy_kernelIcLi8EEvPKT_PS0_m,comdat
	.protected	_Z19threads_copy_kernelIcLi8EEvPKT_PS0_m ; -- Begin function _Z19threads_copy_kernelIcLi8EEvPKT_PS0_m
	.globl	_Z19threads_copy_kernelIcLi8EEvPKT_PS0_m
	.p2align	8
	.type	_Z19threads_copy_kernelIcLi8EEvPKT_PS0_m,@function
_Z19threads_copy_kernelIcLi8EEvPKT_PS0_m: ; @_Z19threads_copy_kernelIcLi8EEvPKT_PS0_m
; %bb.0:
	s_load_b32 s2, s[0:1], 0x24
	s_bfe_u32 s3, ttmp6, 0x4000c
	s_and_b32 s4, ttmp6, 15
	s_add_co_i32 s3, s3, 1
	s_getreg_b32 s5, hwreg(HW_REG_IB_STS2, 6, 4)
	s_mul_i32 s3, ttmp9, s3
	v_dual_mov_b32 v1, 0 :: v_dual_lshlrev_b32 v0, 3, v0
	s_add_co_i32 s4, s4, s3
	s_mov_b32 s6, exec_lo
	s_wait_kmcnt 0x0
	s_and_b32 s2, s2, 0xffff
	s_cmp_eq_u32 s5, 0
	s_cselect_b32 s3, ttmp9, s4
	s_delay_alu instid0(SALU_CYCLE_1) | instskip(SKIP_3) | instid1(VALU_DEP_1)
	s_lshl_b32 s4, s3, 3
	s_lshr_b32 s3, s3, 29
	v_mad_nc_u64_u32 v[0:1], s4, s2, v[0:1]
	s_load_b64 s[4:5], s[0:1], 0x10
	v_mad_u32 v1, s3, s2, v1
	s_wait_xcnt 0x0
	s_load_b128 s[0:3], s[0:1], 0x0
	s_wait_kmcnt 0x0
	s_delay_alu instid0(VALU_DEP_1) | instskip(NEXT) | instid1(VALU_DEP_1)
	v_sub_nc_u64_e32 v[2:3], s[4:5], v[0:1]
	v_cmpx_lt_u64_e32 7, v[2:3]
	s_xor_b32 s6, exec_lo, s6
	s_cbranch_execz .LBB13_2
; %bb.1:
	v_add_nc_u64_e32 v[2:3], s[0:1], v[0:1]
	v_add_nc_u64_e32 v[0:1], s[2:3], v[0:1]
	global_load_b64 v[2:3], v[2:3], off
	s_wait_loadcnt 0x0
	global_store_b64 v[0:1], v[2:3], off
                                        ; implicit-def: $vgpr0_vgpr1
.LBB13_2:
	s_wait_xcnt 0x0
	s_and_not1_saveexec_b32 s6, s6
	s_cbranch_execz .LBB13_6
; %bb.3:
	s_mov_b32 s6, exec_lo
	v_cmpx_gt_u64_e64 s[4:5], v[0:1]
	s_cbranch_execz .LBB13_6
; %bb.4:
	s_mov_b32 s6, 0
.LBB13_5:                               ; =>This Inner Loop Header: Depth=1
	v_add_nc_u64_e32 v[2:3], s[0:1], v[0:1]
	global_load_u8 v4, v[2:3], off
	s_wait_xcnt 0x0
	v_add_nc_u64_e32 v[2:3], s[2:3], v[0:1]
	v_add_nc_u64_e32 v[0:1], 1, v[0:1]
	s_delay_alu instid0(VALU_DEP_1)
	v_cmp_le_u64_e32 vcc_lo, s[4:5], v[0:1]
	s_or_b32 s6, vcc_lo, s6
	s_wait_loadcnt 0x0
	global_store_b8 v[2:3], v4, off
	s_wait_xcnt 0x0
	s_and_not1_b32 exec_lo, exec_lo, s6
	s_cbranch_execnz .LBB13_5
.LBB13_6:
	s_endpgm
	.section	.rodata,"a",@progbits
	.p2align	6, 0x0
	.amdhsa_kernel _Z19threads_copy_kernelIcLi8EEvPKT_PS0_m
		.amdhsa_group_segment_fixed_size 0
		.amdhsa_private_segment_fixed_size 0
		.amdhsa_kernarg_size 280
		.amdhsa_user_sgpr_count 2
		.amdhsa_user_sgpr_dispatch_ptr 0
		.amdhsa_user_sgpr_queue_ptr 0
		.amdhsa_user_sgpr_kernarg_segment_ptr 1
		.amdhsa_user_sgpr_dispatch_id 0
		.amdhsa_user_sgpr_kernarg_preload_length 0
		.amdhsa_user_sgpr_kernarg_preload_offset 0
		.amdhsa_user_sgpr_private_segment_size 0
		.amdhsa_wavefront_size32 1
		.amdhsa_uses_dynamic_stack 0
		.amdhsa_enable_private_segment 0
		.amdhsa_system_sgpr_workgroup_id_x 1
		.amdhsa_system_sgpr_workgroup_id_y 0
		.amdhsa_system_sgpr_workgroup_id_z 0
		.amdhsa_system_sgpr_workgroup_info 0
		.amdhsa_system_vgpr_workitem_id 0
		.amdhsa_next_free_vgpr 5
		.amdhsa_next_free_sgpr 7
		.amdhsa_named_barrier_count 0
		.amdhsa_reserve_vcc 1
		.amdhsa_float_round_mode_32 0
		.amdhsa_float_round_mode_16_64 0
		.amdhsa_float_denorm_mode_32 3
		.amdhsa_float_denorm_mode_16_64 3
		.amdhsa_fp16_overflow 0
		.amdhsa_memory_ordered 1
		.amdhsa_forward_progress 1
		.amdhsa_inst_pref_size 3
		.amdhsa_round_robin_scheduling 0
		.amdhsa_exception_fp_ieee_invalid_op 0
		.amdhsa_exception_fp_denorm_src 0
		.amdhsa_exception_fp_ieee_div_zero 0
		.amdhsa_exception_fp_ieee_overflow 0
		.amdhsa_exception_fp_ieee_underflow 0
		.amdhsa_exception_fp_ieee_inexact 0
		.amdhsa_exception_int_div_zero 0
	.end_amdhsa_kernel
	.section	.text._Z19threads_copy_kernelIcLi8EEvPKT_PS0_m,"axG",@progbits,_Z19threads_copy_kernelIcLi8EEvPKT_PS0_m,comdat
.Lfunc_end13:
	.size	_Z19threads_copy_kernelIcLi8EEvPKT_PS0_m, .Lfunc_end13-_Z19threads_copy_kernelIcLi8EEvPKT_PS0_m
                                        ; -- End function
	.set _Z19threads_copy_kernelIcLi8EEvPKT_PS0_m.num_vgpr, 5
	.set _Z19threads_copy_kernelIcLi8EEvPKT_PS0_m.num_agpr, 0
	.set _Z19threads_copy_kernelIcLi8EEvPKT_PS0_m.numbered_sgpr, 7
	.set _Z19threads_copy_kernelIcLi8EEvPKT_PS0_m.num_named_barrier, 0
	.set _Z19threads_copy_kernelIcLi8EEvPKT_PS0_m.private_seg_size, 0
	.set _Z19threads_copy_kernelIcLi8EEvPKT_PS0_m.uses_vcc, 1
	.set _Z19threads_copy_kernelIcLi8EEvPKT_PS0_m.uses_flat_scratch, 0
	.set _Z19threads_copy_kernelIcLi8EEvPKT_PS0_m.has_dyn_sized_stack, 0
	.set _Z19threads_copy_kernelIcLi8EEvPKT_PS0_m.has_recursion, 0
	.set _Z19threads_copy_kernelIcLi8EEvPKT_PS0_m.has_indirect_call, 0
	.section	.AMDGPU.csdata,"",@progbits
; Kernel info:
; codeLenInByte = 280
; TotalNumSgprs: 9
; NumVgprs: 5
; ScratchSize: 0
; MemoryBound: 0
; FloatMode: 240
; IeeeMode: 1
; LDSByteSize: 0 bytes/workgroup (compile time only)
; SGPRBlocks: 0
; VGPRBlocks: 0
; NumSGPRsForWavesPerEU: 9
; NumVGPRsForWavesPerEU: 5
; NamedBarCnt: 0
; Occupancy: 16
; WaveLimiterHint : 0
; COMPUTE_PGM_RSRC2:SCRATCH_EN: 0
; COMPUTE_PGM_RSRC2:USER_SGPR: 2
; COMPUTE_PGM_RSRC2:TRAP_HANDLER: 0
; COMPUTE_PGM_RSRC2:TGID_X_EN: 1
; COMPUTE_PGM_RSRC2:TGID_Y_EN: 0
; COMPUTE_PGM_RSRC2:TGID_Z_EN: 0
; COMPUTE_PGM_RSRC2:TIDIG_COMP_CNT: 0
	.section	.text._Z19threads_copy_kernelIcLi16EEvPKT_PS0_m,"axG",@progbits,_Z19threads_copy_kernelIcLi16EEvPKT_PS0_m,comdat
	.protected	_Z19threads_copy_kernelIcLi16EEvPKT_PS0_m ; -- Begin function _Z19threads_copy_kernelIcLi16EEvPKT_PS0_m
	.globl	_Z19threads_copy_kernelIcLi16EEvPKT_PS0_m
	.p2align	8
	.type	_Z19threads_copy_kernelIcLi16EEvPKT_PS0_m,@function
_Z19threads_copy_kernelIcLi16EEvPKT_PS0_m: ; @_Z19threads_copy_kernelIcLi16EEvPKT_PS0_m
; %bb.0:
	s_load_b32 s2, s[0:1], 0x24
	s_bfe_u32 s3, ttmp6, 0x4000c
	s_and_b32 s4, ttmp6, 15
	s_add_co_i32 s3, s3, 1
	s_getreg_b32 s5, hwreg(HW_REG_IB_STS2, 6, 4)
	s_mul_i32 s3, ttmp9, s3
	v_dual_mov_b32 v1, 0 :: v_dual_lshlrev_b32 v0, 4, v0
	s_add_co_i32 s4, s4, s3
	s_mov_b32 s6, exec_lo
	s_wait_kmcnt 0x0
	s_and_b32 s2, s2, 0xffff
	s_cmp_eq_u32 s5, 0
	s_cselect_b32 s3, ttmp9, s4
	s_delay_alu instid0(SALU_CYCLE_1) | instskip(SKIP_3) | instid1(VALU_DEP_1)
	s_lshl_b32 s4, s3, 4
	s_lshr_b32 s3, s3, 28
	v_mad_nc_u64_u32 v[0:1], s4, s2, v[0:1]
	s_load_b64 s[4:5], s[0:1], 0x10
	v_mad_u32 v1, s3, s2, v1
	s_wait_xcnt 0x0
	s_load_b128 s[0:3], s[0:1], 0x0
	s_wait_kmcnt 0x0
	s_delay_alu instid0(VALU_DEP_1) | instskip(NEXT) | instid1(VALU_DEP_1)
	v_sub_nc_u64_e32 v[2:3], s[4:5], v[0:1]
	v_cmpx_lt_u64_e32 15, v[2:3]
	s_xor_b32 s6, exec_lo, s6
	s_cbranch_execz .LBB14_2
; %bb.1:
	v_add_nc_u64_e32 v[2:3], s[0:1], v[0:1]
	v_add_nc_u64_e32 v[0:1], s[2:3], v[0:1]
	global_load_b128 v[2:5], v[2:3], off
	s_wait_loadcnt 0x0
	global_store_b128 v[0:1], v[2:5], off
                                        ; implicit-def: $vgpr0_vgpr1
.LBB14_2:
	s_wait_xcnt 0x0
	s_and_not1_saveexec_b32 s6, s6
	s_cbranch_execz .LBB14_6
; %bb.3:
	s_mov_b32 s6, exec_lo
	v_cmpx_gt_u64_e64 s[4:5], v[0:1]
	s_cbranch_execz .LBB14_6
; %bb.4:
	s_mov_b32 s6, 0
.LBB14_5:                               ; =>This Inner Loop Header: Depth=1
	v_add_nc_u64_e32 v[2:3], s[0:1], v[0:1]
	global_load_u8 v4, v[2:3], off
	s_wait_xcnt 0x0
	v_add_nc_u64_e32 v[2:3], s[2:3], v[0:1]
	v_add_nc_u64_e32 v[0:1], 1, v[0:1]
	s_delay_alu instid0(VALU_DEP_1)
	v_cmp_le_u64_e32 vcc_lo, s[4:5], v[0:1]
	s_or_b32 s6, vcc_lo, s6
	s_wait_loadcnt 0x0
	global_store_b8 v[2:3], v4, off
	s_wait_xcnt 0x0
	s_and_not1_b32 exec_lo, exec_lo, s6
	s_cbranch_execnz .LBB14_5
.LBB14_6:
	s_endpgm
	.section	.rodata,"a",@progbits
	.p2align	6, 0x0
	.amdhsa_kernel _Z19threads_copy_kernelIcLi16EEvPKT_PS0_m
		.amdhsa_group_segment_fixed_size 0
		.amdhsa_private_segment_fixed_size 0
		.amdhsa_kernarg_size 280
		.amdhsa_user_sgpr_count 2
		.amdhsa_user_sgpr_dispatch_ptr 0
		.amdhsa_user_sgpr_queue_ptr 0
		.amdhsa_user_sgpr_kernarg_segment_ptr 1
		.amdhsa_user_sgpr_dispatch_id 0
		.amdhsa_user_sgpr_kernarg_preload_length 0
		.amdhsa_user_sgpr_kernarg_preload_offset 0
		.amdhsa_user_sgpr_private_segment_size 0
		.amdhsa_wavefront_size32 1
		.amdhsa_uses_dynamic_stack 0
		.amdhsa_enable_private_segment 0
		.amdhsa_system_sgpr_workgroup_id_x 1
		.amdhsa_system_sgpr_workgroup_id_y 0
		.amdhsa_system_sgpr_workgroup_id_z 0
		.amdhsa_system_sgpr_workgroup_info 0
		.amdhsa_system_vgpr_workitem_id 0
		.amdhsa_next_free_vgpr 6
		.amdhsa_next_free_sgpr 7
		.amdhsa_named_barrier_count 0
		.amdhsa_reserve_vcc 1
		.amdhsa_float_round_mode_32 0
		.amdhsa_float_round_mode_16_64 0
		.amdhsa_float_denorm_mode_32 3
		.amdhsa_float_denorm_mode_16_64 3
		.amdhsa_fp16_overflow 0
		.amdhsa_memory_ordered 1
		.amdhsa_forward_progress 1
		.amdhsa_inst_pref_size 3
		.amdhsa_round_robin_scheduling 0
		.amdhsa_exception_fp_ieee_invalid_op 0
		.amdhsa_exception_fp_denorm_src 0
		.amdhsa_exception_fp_ieee_div_zero 0
		.amdhsa_exception_fp_ieee_overflow 0
		.amdhsa_exception_fp_ieee_underflow 0
		.amdhsa_exception_fp_ieee_inexact 0
		.amdhsa_exception_int_div_zero 0
	.end_amdhsa_kernel
	.section	.text._Z19threads_copy_kernelIcLi16EEvPKT_PS0_m,"axG",@progbits,_Z19threads_copy_kernelIcLi16EEvPKT_PS0_m,comdat
.Lfunc_end14:
	.size	_Z19threads_copy_kernelIcLi16EEvPKT_PS0_m, .Lfunc_end14-_Z19threads_copy_kernelIcLi16EEvPKT_PS0_m
                                        ; -- End function
	.set _Z19threads_copy_kernelIcLi16EEvPKT_PS0_m.num_vgpr, 6
	.set _Z19threads_copy_kernelIcLi16EEvPKT_PS0_m.num_agpr, 0
	.set _Z19threads_copy_kernelIcLi16EEvPKT_PS0_m.numbered_sgpr, 7
	.set _Z19threads_copy_kernelIcLi16EEvPKT_PS0_m.num_named_barrier, 0
	.set _Z19threads_copy_kernelIcLi16EEvPKT_PS0_m.private_seg_size, 0
	.set _Z19threads_copy_kernelIcLi16EEvPKT_PS0_m.uses_vcc, 1
	.set _Z19threads_copy_kernelIcLi16EEvPKT_PS0_m.uses_flat_scratch, 0
	.set _Z19threads_copy_kernelIcLi16EEvPKT_PS0_m.has_dyn_sized_stack, 0
	.set _Z19threads_copy_kernelIcLi16EEvPKT_PS0_m.has_recursion, 0
	.set _Z19threads_copy_kernelIcLi16EEvPKT_PS0_m.has_indirect_call, 0
	.section	.AMDGPU.csdata,"",@progbits
; Kernel info:
; codeLenInByte = 280
; TotalNumSgprs: 9
; NumVgprs: 6
; ScratchSize: 0
; MemoryBound: 0
; FloatMode: 240
; IeeeMode: 1
; LDSByteSize: 0 bytes/workgroup (compile time only)
; SGPRBlocks: 0
; VGPRBlocks: 0
; NumSGPRsForWavesPerEU: 9
; NumVGPRsForWavesPerEU: 6
; NamedBarCnt: 0
; Occupancy: 16
; WaveLimiterHint : 0
; COMPUTE_PGM_RSRC2:SCRATCH_EN: 0
; COMPUTE_PGM_RSRC2:USER_SGPR: 2
; COMPUTE_PGM_RSRC2:TRAP_HANDLER: 0
; COMPUTE_PGM_RSRC2:TGID_X_EN: 1
; COMPUTE_PGM_RSRC2:TGID_Y_EN: 0
; COMPUTE_PGM_RSRC2:TGID_Z_EN: 0
; COMPUTE_PGM_RSRC2:TIDIG_COMP_CNT: 0
	.section	.AMDGPU.gpr_maximums,"",@progbits
	.set amdgpu.max_num_vgpr, 0
	.set amdgpu.max_num_agpr, 0
	.set amdgpu.max_num_sgpr, 0
	.section	.AMDGPU.csdata,"",@progbits
	.type	__hip_cuid_c8311685bf49dfa4,@object ; @__hip_cuid_c8311685bf49dfa4
	.section	.bss,"aw",@nobits
	.globl	__hip_cuid_c8311685bf49dfa4
__hip_cuid_c8311685bf49dfa4:
	.byte	0                               ; 0x0
	.size	__hip_cuid_c8311685bf49dfa4, 1

	.ident	"AMD clang version 22.0.0git (https://github.com/RadeonOpenCompute/llvm-project roc-7.2.4 26084 f58b06dce1f9c15707c5f808fd002e18c2accf7e)"
	.section	".note.GNU-stack","",@progbits
	.addrsig
	.addrsig_sym __hip_cuid_c8311685bf49dfa4
	.amdgpu_metadata
---
amdhsa.kernels:
  - .args:
      - .address_space:  global
        .offset:         0
        .size:           8
        .value_kind:     global_buffer
      - .address_space:  global
        .offset:         8
        .size:           8
        .value_kind:     global_buffer
      - .offset:         16
        .size:           8
        .value_kind:     by_value
      - .offset:         24
        .size:           4
        .value_kind:     hidden_block_count_x
      - .offset:         28
        .size:           4
        .value_kind:     hidden_block_count_y
      - .offset:         32
        .size:           4
        .value_kind:     hidden_block_count_z
      - .offset:         36
        .size:           2
        .value_kind:     hidden_group_size_x
      - .offset:         38
        .size:           2
        .value_kind:     hidden_group_size_y
      - .offset:         40
        .size:           2
        .value_kind:     hidden_group_size_z
      - .offset:         42
        .size:           2
        .value_kind:     hidden_remainder_x
      - .offset:         44
        .size:           2
        .value_kind:     hidden_remainder_y
      - .offset:         46
        .size:           2
        .value_kind:     hidden_remainder_z
      - .offset:         64
        .size:           8
        .value_kind:     hidden_global_offset_x
      - .offset:         72
        .size:           8
        .value_kind:     hidden_global_offset_y
      - .offset:         80
        .size:           8
        .value_kind:     hidden_global_offset_z
      - .offset:         88
        .size:           2
        .value_kind:     hidden_grid_dims
    .group_segment_fixed_size: 0
    .kernarg_segment_align: 8
    .kernarg_segment_size: 280
    .language:       OpenCL C
    .language_version:
      - 2
      - 0
    .max_flat_workgroup_size: 1024
    .name:           _Z19threads_copy_kernelIiLi1EEvPKT_PS0_m
    .private_segment_fixed_size: 0
    .sgpr_count:     10
    .sgpr_spill_count: 0
    .symbol:         _Z19threads_copy_kernelIiLi1EEvPKT_PS0_m.kd
    .uniform_work_group_size: 1
    .uses_dynamic_stack: false
    .vgpr_count:     4
    .vgpr_spill_count: 0
    .wavefront_size: 32
  - .args:
      - .address_space:  global
        .offset:         0
        .size:           8
        .value_kind:     global_buffer
      - .address_space:  global
        .offset:         8
        .size:           8
        .value_kind:     global_buffer
      - .offset:         16
        .size:           8
        .value_kind:     by_value
      - .offset:         24
        .size:           4
        .value_kind:     hidden_block_count_x
      - .offset:         28
        .size:           4
        .value_kind:     hidden_block_count_y
      - .offset:         32
        .size:           4
        .value_kind:     hidden_block_count_z
      - .offset:         36
        .size:           2
        .value_kind:     hidden_group_size_x
      - .offset:         38
        .size:           2
        .value_kind:     hidden_group_size_y
      - .offset:         40
        .size:           2
        .value_kind:     hidden_group_size_z
      - .offset:         42
        .size:           2
        .value_kind:     hidden_remainder_x
      - .offset:         44
        .size:           2
        .value_kind:     hidden_remainder_y
      - .offset:         46
        .size:           2
        .value_kind:     hidden_remainder_z
      - .offset:         64
        .size:           8
        .value_kind:     hidden_global_offset_x
      - .offset:         72
        .size:           8
        .value_kind:     hidden_global_offset_y
      - .offset:         80
        .size:           8
        .value_kind:     hidden_global_offset_z
      - .offset:         88
        .size:           2
        .value_kind:     hidden_grid_dims
    .group_segment_fixed_size: 0
    .kernarg_segment_align: 8
    .kernarg_segment_size: 280
    .language:       OpenCL C
    .language_version:
      - 2
      - 0
    .max_flat_workgroup_size: 1024
    .name:           _Z19threads_copy_kernelIiLi2EEvPKT_PS0_m
    .private_segment_fixed_size: 0
    .sgpr_count:     12
    .sgpr_spill_count: 0
    .symbol:         _Z19threads_copy_kernelIiLi2EEvPKT_PS0_m.kd
    .uniform_work_group_size: 1
    .uses_dynamic_stack: false
    .vgpr_count:     7
    .vgpr_spill_count: 0
    .wavefront_size: 32
  - .args:
      - .address_space:  global
        .offset:         0
        .size:           8
        .value_kind:     global_buffer
      - .address_space:  global
        .offset:         8
        .size:           8
        .value_kind:     global_buffer
      - .offset:         16
        .size:           8
        .value_kind:     by_value
      - .offset:         24
        .size:           4
        .value_kind:     hidden_block_count_x
      - .offset:         28
        .size:           4
        .value_kind:     hidden_block_count_y
      - .offset:         32
        .size:           4
        .value_kind:     hidden_block_count_z
      - .offset:         36
        .size:           2
        .value_kind:     hidden_group_size_x
      - .offset:         38
        .size:           2
        .value_kind:     hidden_group_size_y
      - .offset:         40
        .size:           2
        .value_kind:     hidden_group_size_z
      - .offset:         42
        .size:           2
        .value_kind:     hidden_remainder_x
      - .offset:         44
        .size:           2
        .value_kind:     hidden_remainder_y
      - .offset:         46
        .size:           2
        .value_kind:     hidden_remainder_z
      - .offset:         64
        .size:           8
        .value_kind:     hidden_global_offset_x
      - .offset:         72
        .size:           8
        .value_kind:     hidden_global_offset_y
      - .offset:         80
        .size:           8
        .value_kind:     hidden_global_offset_z
      - .offset:         88
        .size:           2
        .value_kind:     hidden_grid_dims
    .group_segment_fixed_size: 0
    .kernarg_segment_align: 8
    .kernarg_segment_size: 280
    .language:       OpenCL C
    .language_version:
      - 2
      - 0
    .max_flat_workgroup_size: 1024
    .name:           _Z19threads_copy_kernelIiLi4EEvPKT_PS0_m
    .private_segment_fixed_size: 0
    .sgpr_count:     12
    .sgpr_spill_count: 0
    .symbol:         _Z19threads_copy_kernelIiLi4EEvPKT_PS0_m.kd
    .uniform_work_group_size: 1
    .uses_dynamic_stack: false
    .vgpr_count:     7
    .vgpr_spill_count: 0
    .wavefront_size: 32
  - .args:
      - .address_space:  global
        .offset:         0
        .size:           8
        .value_kind:     global_buffer
      - .address_space:  global
        .offset:         8
        .size:           8
        .value_kind:     global_buffer
      - .offset:         16
        .size:           8
        .value_kind:     by_value
      - .offset:         24
        .size:           4
        .value_kind:     hidden_block_count_x
      - .offset:         28
        .size:           4
        .value_kind:     hidden_block_count_y
      - .offset:         32
        .size:           4
        .value_kind:     hidden_block_count_z
      - .offset:         36
        .size:           2
        .value_kind:     hidden_group_size_x
      - .offset:         38
        .size:           2
        .value_kind:     hidden_group_size_y
      - .offset:         40
        .size:           2
        .value_kind:     hidden_group_size_z
      - .offset:         42
        .size:           2
        .value_kind:     hidden_remainder_x
      - .offset:         44
        .size:           2
        .value_kind:     hidden_remainder_y
      - .offset:         46
        .size:           2
        .value_kind:     hidden_remainder_z
      - .offset:         64
        .size:           8
        .value_kind:     hidden_global_offset_x
      - .offset:         72
        .size:           8
        .value_kind:     hidden_global_offset_y
      - .offset:         80
        .size:           8
        .value_kind:     hidden_global_offset_z
      - .offset:         88
        .size:           2
        .value_kind:     hidden_grid_dims
    .group_segment_fixed_size: 0
    .kernarg_segment_align: 8
    .kernarg_segment_size: 280
    .language:       OpenCL C
    .language_version:
      - 2
      - 0
    .max_flat_workgroup_size: 1024
    .name:           _Z19threads_copy_kernelIiLi8EEvPKT_PS0_m
    .private_segment_fixed_size: 0
    .sgpr_count:     12
    .sgpr_spill_count: 0
    .symbol:         _Z19threads_copy_kernelIiLi8EEvPKT_PS0_m.kd
    .uniform_work_group_size: 1
    .uses_dynamic_stack: false
    .vgpr_count:     8
    .vgpr_spill_count: 0
    .wavefront_size: 32
  - .args:
      - .address_space:  global
        .offset:         0
        .size:           8
        .value_kind:     global_buffer
      - .address_space:  global
        .offset:         8
        .size:           8
        .value_kind:     global_buffer
      - .offset:         16
        .size:           8
        .value_kind:     by_value
      - .offset:         24
        .size:           4
        .value_kind:     hidden_block_count_x
      - .offset:         28
        .size:           4
        .value_kind:     hidden_block_count_y
      - .offset:         32
        .size:           4
        .value_kind:     hidden_block_count_z
      - .offset:         36
        .size:           2
        .value_kind:     hidden_group_size_x
      - .offset:         38
        .size:           2
        .value_kind:     hidden_group_size_y
      - .offset:         40
        .size:           2
        .value_kind:     hidden_group_size_z
      - .offset:         42
        .size:           2
        .value_kind:     hidden_remainder_x
      - .offset:         44
        .size:           2
        .value_kind:     hidden_remainder_y
      - .offset:         46
        .size:           2
        .value_kind:     hidden_remainder_z
      - .offset:         64
        .size:           8
        .value_kind:     hidden_global_offset_x
      - .offset:         72
        .size:           8
        .value_kind:     hidden_global_offset_y
      - .offset:         80
        .size:           8
        .value_kind:     hidden_global_offset_z
      - .offset:         88
        .size:           2
        .value_kind:     hidden_grid_dims
    .group_segment_fixed_size: 0
    .kernarg_segment_align: 8
    .kernarg_segment_size: 280
    .language:       OpenCL C
    .language_version:
      - 2
      - 0
    .max_flat_workgroup_size: 1024
    .name:           _Z19threads_copy_kernelIiLi16EEvPKT_PS0_m
    .private_segment_fixed_size: 0
    .sgpr_count:     12
    .sgpr_spill_count: 0
    .symbol:         _Z19threads_copy_kernelIiLi16EEvPKT_PS0_m.kd
    .uniform_work_group_size: 1
    .uses_dynamic_stack: false
    .vgpr_count:     16
    .vgpr_spill_count: 0
    .wavefront_size: 32
  - .args:
      - .address_space:  global
        .offset:         0
        .size:           8
        .value_kind:     global_buffer
      - .address_space:  global
        .offset:         8
        .size:           8
        .value_kind:     global_buffer
      - .offset:         16
        .size:           8
        .value_kind:     by_value
      - .offset:         24
        .size:           4
        .value_kind:     hidden_block_count_x
      - .offset:         28
        .size:           4
        .value_kind:     hidden_block_count_y
      - .offset:         32
        .size:           4
        .value_kind:     hidden_block_count_z
      - .offset:         36
        .size:           2
        .value_kind:     hidden_group_size_x
      - .offset:         38
        .size:           2
        .value_kind:     hidden_group_size_y
      - .offset:         40
        .size:           2
        .value_kind:     hidden_group_size_z
      - .offset:         42
        .size:           2
        .value_kind:     hidden_remainder_x
      - .offset:         44
        .size:           2
        .value_kind:     hidden_remainder_y
      - .offset:         46
        .size:           2
        .value_kind:     hidden_remainder_z
      - .offset:         64
        .size:           8
        .value_kind:     hidden_global_offset_x
      - .offset:         72
        .size:           8
        .value_kind:     hidden_global_offset_y
      - .offset:         80
        .size:           8
        .value_kind:     hidden_global_offset_z
      - .offset:         88
        .size:           2
        .value_kind:     hidden_grid_dims
    .group_segment_fixed_size: 0
    .kernarg_segment_align: 8
    .kernarg_segment_size: 280
    .language:       OpenCL C
    .language_version:
      - 2
      - 0
    .max_flat_workgroup_size: 1024
    .name:           _Z19threads_copy_kernelIsLi1EEvPKT_PS0_m
    .private_segment_fixed_size: 0
    .sgpr_count:     10
    .sgpr_spill_count: 0
    .symbol:         _Z19threads_copy_kernelIsLi1EEvPKT_PS0_m.kd
    .uniform_work_group_size: 1
    .uses_dynamic_stack: false
    .vgpr_count:     4
    .vgpr_spill_count: 0
    .wavefront_size: 32
  - .args:
      - .address_space:  global
        .offset:         0
        .size:           8
        .value_kind:     global_buffer
      - .address_space:  global
        .offset:         8
        .size:           8
        .value_kind:     global_buffer
      - .offset:         16
        .size:           8
        .value_kind:     by_value
      - .offset:         24
        .size:           4
        .value_kind:     hidden_block_count_x
      - .offset:         28
        .size:           4
        .value_kind:     hidden_block_count_y
      - .offset:         32
        .size:           4
        .value_kind:     hidden_block_count_z
      - .offset:         36
        .size:           2
        .value_kind:     hidden_group_size_x
      - .offset:         38
        .size:           2
        .value_kind:     hidden_group_size_y
      - .offset:         40
        .size:           2
        .value_kind:     hidden_group_size_z
      - .offset:         42
        .size:           2
        .value_kind:     hidden_remainder_x
      - .offset:         44
        .size:           2
        .value_kind:     hidden_remainder_y
      - .offset:         46
        .size:           2
        .value_kind:     hidden_remainder_z
      - .offset:         64
        .size:           8
        .value_kind:     hidden_global_offset_x
      - .offset:         72
        .size:           8
        .value_kind:     hidden_global_offset_y
      - .offset:         80
        .size:           8
        .value_kind:     hidden_global_offset_z
      - .offset:         88
        .size:           2
        .value_kind:     hidden_grid_dims
    .group_segment_fixed_size: 0
    .kernarg_segment_align: 8
    .kernarg_segment_size: 280
    .language:       OpenCL C
    .language_version:
      - 2
      - 0
    .max_flat_workgroup_size: 1024
    .name:           _Z19threads_copy_kernelIsLi2EEvPKT_PS0_m
    .private_segment_fixed_size: 0
    .sgpr_count:     12
    .sgpr_spill_count: 0
    .symbol:         _Z19threads_copy_kernelIsLi2EEvPKT_PS0_m.kd
    .uniform_work_group_size: 1
    .uses_dynamic_stack: false
    .vgpr_count:     7
    .vgpr_spill_count: 0
    .wavefront_size: 32
  - .args:
      - .address_space:  global
        .offset:         0
        .size:           8
        .value_kind:     global_buffer
      - .address_space:  global
        .offset:         8
        .size:           8
        .value_kind:     global_buffer
      - .offset:         16
        .size:           8
        .value_kind:     by_value
      - .offset:         24
        .size:           4
        .value_kind:     hidden_block_count_x
      - .offset:         28
        .size:           4
        .value_kind:     hidden_block_count_y
      - .offset:         32
        .size:           4
        .value_kind:     hidden_block_count_z
      - .offset:         36
        .size:           2
        .value_kind:     hidden_group_size_x
      - .offset:         38
        .size:           2
        .value_kind:     hidden_group_size_y
      - .offset:         40
        .size:           2
        .value_kind:     hidden_group_size_z
      - .offset:         42
        .size:           2
        .value_kind:     hidden_remainder_x
      - .offset:         44
        .size:           2
        .value_kind:     hidden_remainder_y
      - .offset:         46
        .size:           2
        .value_kind:     hidden_remainder_z
      - .offset:         64
        .size:           8
        .value_kind:     hidden_global_offset_x
      - .offset:         72
        .size:           8
        .value_kind:     hidden_global_offset_y
      - .offset:         80
        .size:           8
        .value_kind:     hidden_global_offset_z
      - .offset:         88
        .size:           2
        .value_kind:     hidden_grid_dims
    .group_segment_fixed_size: 0
    .kernarg_segment_align: 8
    .kernarg_segment_size: 280
    .language:       OpenCL C
    .language_version:
      - 2
      - 0
    .max_flat_workgroup_size: 1024
    .name:           _Z19threads_copy_kernelIsLi4EEvPKT_PS0_m
    .private_segment_fixed_size: 0
    .sgpr_count:     12
    .sgpr_spill_count: 0
    .symbol:         _Z19threads_copy_kernelIsLi4EEvPKT_PS0_m.kd
    .uniform_work_group_size: 1
    .uses_dynamic_stack: false
    .vgpr_count:     7
    .vgpr_spill_count: 0
    .wavefront_size: 32
  - .args:
      - .address_space:  global
        .offset:         0
        .size:           8
        .value_kind:     global_buffer
      - .address_space:  global
        .offset:         8
        .size:           8
        .value_kind:     global_buffer
      - .offset:         16
        .size:           8
        .value_kind:     by_value
      - .offset:         24
        .size:           4
        .value_kind:     hidden_block_count_x
      - .offset:         28
        .size:           4
        .value_kind:     hidden_block_count_y
      - .offset:         32
        .size:           4
        .value_kind:     hidden_block_count_z
      - .offset:         36
        .size:           2
        .value_kind:     hidden_group_size_x
      - .offset:         38
        .size:           2
        .value_kind:     hidden_group_size_y
      - .offset:         40
        .size:           2
        .value_kind:     hidden_group_size_z
      - .offset:         42
        .size:           2
        .value_kind:     hidden_remainder_x
      - .offset:         44
        .size:           2
        .value_kind:     hidden_remainder_y
      - .offset:         46
        .size:           2
        .value_kind:     hidden_remainder_z
      - .offset:         64
        .size:           8
        .value_kind:     hidden_global_offset_x
      - .offset:         72
        .size:           8
        .value_kind:     hidden_global_offset_y
      - .offset:         80
        .size:           8
        .value_kind:     hidden_global_offset_z
      - .offset:         88
        .size:           2
        .value_kind:     hidden_grid_dims
    .group_segment_fixed_size: 0
    .kernarg_segment_align: 8
    .kernarg_segment_size: 280
    .language:       OpenCL C
    .language_version:
      - 2
      - 0
    .max_flat_workgroup_size: 1024
    .name:           _Z19threads_copy_kernelIsLi8EEvPKT_PS0_m
    .private_segment_fixed_size: 0
    .sgpr_count:     12
    .sgpr_spill_count: 0
    .symbol:         _Z19threads_copy_kernelIsLi8EEvPKT_PS0_m.kd
    .uniform_work_group_size: 1
    .uses_dynamic_stack: false
    .vgpr_count:     7
    .vgpr_spill_count: 0
    .wavefront_size: 32
  - .args:
      - .address_space:  global
        .offset:         0
        .size:           8
        .value_kind:     global_buffer
      - .address_space:  global
        .offset:         8
        .size:           8
        .value_kind:     global_buffer
      - .offset:         16
        .size:           8
        .value_kind:     by_value
      - .offset:         24
        .size:           4
        .value_kind:     hidden_block_count_x
      - .offset:         28
        .size:           4
        .value_kind:     hidden_block_count_y
      - .offset:         32
        .size:           4
        .value_kind:     hidden_block_count_z
      - .offset:         36
        .size:           2
        .value_kind:     hidden_group_size_x
      - .offset:         38
        .size:           2
        .value_kind:     hidden_group_size_y
      - .offset:         40
        .size:           2
        .value_kind:     hidden_group_size_z
      - .offset:         42
        .size:           2
        .value_kind:     hidden_remainder_x
      - .offset:         44
        .size:           2
        .value_kind:     hidden_remainder_y
      - .offset:         46
        .size:           2
        .value_kind:     hidden_remainder_z
      - .offset:         64
        .size:           8
        .value_kind:     hidden_global_offset_x
      - .offset:         72
        .size:           8
        .value_kind:     hidden_global_offset_y
      - .offset:         80
        .size:           8
        .value_kind:     hidden_global_offset_z
      - .offset:         88
        .size:           2
        .value_kind:     hidden_grid_dims
    .group_segment_fixed_size: 0
    .kernarg_segment_align: 8
    .kernarg_segment_size: 280
    .language:       OpenCL C
    .language_version:
      - 2
      - 0
    .max_flat_workgroup_size: 1024
    .name:           _Z19threads_copy_kernelIsLi16EEvPKT_PS0_m
    .private_segment_fixed_size: 0
    .sgpr_count:     12
    .sgpr_spill_count: 0
    .symbol:         _Z19threads_copy_kernelIsLi16EEvPKT_PS0_m.kd
    .uniform_work_group_size: 1
    .uses_dynamic_stack: false
    .vgpr_count:     8
    .vgpr_spill_count: 0
    .wavefront_size: 32
  - .args:
      - .address_space:  global
        .offset:         0
        .size:           8
        .value_kind:     global_buffer
      - .address_space:  global
        .offset:         8
        .size:           8
        .value_kind:     global_buffer
      - .offset:         16
        .size:           8
        .value_kind:     by_value
      - .offset:         24
        .size:           4
        .value_kind:     hidden_block_count_x
      - .offset:         28
        .size:           4
        .value_kind:     hidden_block_count_y
      - .offset:         32
        .size:           4
        .value_kind:     hidden_block_count_z
      - .offset:         36
        .size:           2
        .value_kind:     hidden_group_size_x
      - .offset:         38
        .size:           2
        .value_kind:     hidden_group_size_y
      - .offset:         40
        .size:           2
        .value_kind:     hidden_group_size_z
      - .offset:         42
        .size:           2
        .value_kind:     hidden_remainder_x
      - .offset:         44
        .size:           2
        .value_kind:     hidden_remainder_y
      - .offset:         46
        .size:           2
        .value_kind:     hidden_remainder_z
      - .offset:         64
        .size:           8
        .value_kind:     hidden_global_offset_x
      - .offset:         72
        .size:           8
        .value_kind:     hidden_global_offset_y
      - .offset:         80
        .size:           8
        .value_kind:     hidden_global_offset_z
      - .offset:         88
        .size:           2
        .value_kind:     hidden_grid_dims
    .group_segment_fixed_size: 0
    .kernarg_segment_align: 8
    .kernarg_segment_size: 280
    .language:       OpenCL C
    .language_version:
      - 2
      - 0
    .max_flat_workgroup_size: 1024
    .name:           _Z19threads_copy_kernelIcLi1EEvPKT_PS0_m
    .private_segment_fixed_size: 0
    .sgpr_count:     10
    .sgpr_spill_count: 0
    .symbol:         _Z19threads_copy_kernelIcLi1EEvPKT_PS0_m.kd
    .uniform_work_group_size: 1
    .uses_dynamic_stack: false
    .vgpr_count:     4
    .vgpr_spill_count: 0
    .wavefront_size: 32
  - .args:
      - .address_space:  global
        .offset:         0
        .size:           8
        .value_kind:     global_buffer
      - .address_space:  global
        .offset:         8
        .size:           8
        .value_kind:     global_buffer
      - .offset:         16
        .size:           8
        .value_kind:     by_value
      - .offset:         24
        .size:           4
        .value_kind:     hidden_block_count_x
      - .offset:         28
        .size:           4
        .value_kind:     hidden_block_count_y
      - .offset:         32
        .size:           4
        .value_kind:     hidden_block_count_z
      - .offset:         36
        .size:           2
        .value_kind:     hidden_group_size_x
      - .offset:         38
        .size:           2
        .value_kind:     hidden_group_size_y
      - .offset:         40
        .size:           2
        .value_kind:     hidden_group_size_z
      - .offset:         42
        .size:           2
        .value_kind:     hidden_remainder_x
      - .offset:         44
        .size:           2
        .value_kind:     hidden_remainder_y
      - .offset:         46
        .size:           2
        .value_kind:     hidden_remainder_z
      - .offset:         64
        .size:           8
        .value_kind:     hidden_global_offset_x
      - .offset:         72
        .size:           8
        .value_kind:     hidden_global_offset_y
      - .offset:         80
        .size:           8
        .value_kind:     hidden_global_offset_z
      - .offset:         88
        .size:           2
        .value_kind:     hidden_grid_dims
    .group_segment_fixed_size: 0
    .kernarg_segment_align: 8
    .kernarg_segment_size: 280
    .language:       OpenCL C
    .language_version:
      - 2
      - 0
    .max_flat_workgroup_size: 1024
    .name:           _Z19threads_copy_kernelIcLi2EEvPKT_PS0_m
    .private_segment_fixed_size: 0
    .sgpr_count:     9
    .sgpr_spill_count: 0
    .symbol:         _Z19threads_copy_kernelIcLi2EEvPKT_PS0_m.kd
    .uniform_work_group_size: 1
    .uses_dynamic_stack: false
    .vgpr_count:     5
    .vgpr_spill_count: 0
    .wavefront_size: 32
  - .args:
      - .address_space:  global
        .offset:         0
        .size:           8
        .value_kind:     global_buffer
      - .address_space:  global
        .offset:         8
        .size:           8
        .value_kind:     global_buffer
      - .offset:         16
        .size:           8
        .value_kind:     by_value
      - .offset:         24
        .size:           4
        .value_kind:     hidden_block_count_x
      - .offset:         28
        .size:           4
        .value_kind:     hidden_block_count_y
      - .offset:         32
        .size:           4
        .value_kind:     hidden_block_count_z
      - .offset:         36
        .size:           2
        .value_kind:     hidden_group_size_x
      - .offset:         38
        .size:           2
        .value_kind:     hidden_group_size_y
      - .offset:         40
        .size:           2
        .value_kind:     hidden_group_size_z
      - .offset:         42
        .size:           2
        .value_kind:     hidden_remainder_x
      - .offset:         44
        .size:           2
        .value_kind:     hidden_remainder_y
      - .offset:         46
        .size:           2
        .value_kind:     hidden_remainder_z
      - .offset:         64
        .size:           8
        .value_kind:     hidden_global_offset_x
      - .offset:         72
        .size:           8
        .value_kind:     hidden_global_offset_y
      - .offset:         80
        .size:           8
        .value_kind:     hidden_global_offset_z
      - .offset:         88
        .size:           2
        .value_kind:     hidden_grid_dims
    .group_segment_fixed_size: 0
    .kernarg_segment_align: 8
    .kernarg_segment_size: 280
    .language:       OpenCL C
    .language_version:
      - 2
      - 0
    .max_flat_workgroup_size: 1024
    .name:           _Z19threads_copy_kernelIcLi4EEvPKT_PS0_m
    .private_segment_fixed_size: 0
    .sgpr_count:     9
    .sgpr_spill_count: 0
    .symbol:         _Z19threads_copy_kernelIcLi4EEvPKT_PS0_m.kd
    .uniform_work_group_size: 1
    .uses_dynamic_stack: false
    .vgpr_count:     5
    .vgpr_spill_count: 0
    .wavefront_size: 32
  - .args:
      - .address_space:  global
        .offset:         0
        .size:           8
        .value_kind:     global_buffer
      - .address_space:  global
        .offset:         8
        .size:           8
        .value_kind:     global_buffer
      - .offset:         16
        .size:           8
        .value_kind:     by_value
      - .offset:         24
        .size:           4
        .value_kind:     hidden_block_count_x
      - .offset:         28
        .size:           4
        .value_kind:     hidden_block_count_y
      - .offset:         32
        .size:           4
        .value_kind:     hidden_block_count_z
      - .offset:         36
        .size:           2
        .value_kind:     hidden_group_size_x
      - .offset:         38
        .size:           2
        .value_kind:     hidden_group_size_y
      - .offset:         40
        .size:           2
        .value_kind:     hidden_group_size_z
      - .offset:         42
        .size:           2
        .value_kind:     hidden_remainder_x
      - .offset:         44
        .size:           2
        .value_kind:     hidden_remainder_y
      - .offset:         46
        .size:           2
        .value_kind:     hidden_remainder_z
      - .offset:         64
        .size:           8
        .value_kind:     hidden_global_offset_x
      - .offset:         72
        .size:           8
        .value_kind:     hidden_global_offset_y
      - .offset:         80
        .size:           8
        .value_kind:     hidden_global_offset_z
      - .offset:         88
        .size:           2
        .value_kind:     hidden_grid_dims
    .group_segment_fixed_size: 0
    .kernarg_segment_align: 8
    .kernarg_segment_size: 280
    .language:       OpenCL C
    .language_version:
      - 2
      - 0
    .max_flat_workgroup_size: 1024
    .name:           _Z19threads_copy_kernelIcLi8EEvPKT_PS0_m
    .private_segment_fixed_size: 0
    .sgpr_count:     9
    .sgpr_spill_count: 0
    .symbol:         _Z19threads_copy_kernelIcLi8EEvPKT_PS0_m.kd
    .uniform_work_group_size: 1
    .uses_dynamic_stack: false
    .vgpr_count:     5
    .vgpr_spill_count: 0
    .wavefront_size: 32
  - .args:
      - .address_space:  global
        .offset:         0
        .size:           8
        .value_kind:     global_buffer
      - .address_space:  global
        .offset:         8
        .size:           8
        .value_kind:     global_buffer
      - .offset:         16
        .size:           8
        .value_kind:     by_value
      - .offset:         24
        .size:           4
        .value_kind:     hidden_block_count_x
      - .offset:         28
        .size:           4
        .value_kind:     hidden_block_count_y
      - .offset:         32
        .size:           4
        .value_kind:     hidden_block_count_z
      - .offset:         36
        .size:           2
        .value_kind:     hidden_group_size_x
      - .offset:         38
        .size:           2
        .value_kind:     hidden_group_size_y
      - .offset:         40
        .size:           2
        .value_kind:     hidden_group_size_z
      - .offset:         42
        .size:           2
        .value_kind:     hidden_remainder_x
      - .offset:         44
        .size:           2
        .value_kind:     hidden_remainder_y
      - .offset:         46
        .size:           2
        .value_kind:     hidden_remainder_z
      - .offset:         64
        .size:           8
        .value_kind:     hidden_global_offset_x
      - .offset:         72
        .size:           8
        .value_kind:     hidden_global_offset_y
      - .offset:         80
        .size:           8
        .value_kind:     hidden_global_offset_z
      - .offset:         88
        .size:           2
        .value_kind:     hidden_grid_dims
    .group_segment_fixed_size: 0
    .kernarg_segment_align: 8
    .kernarg_segment_size: 280
    .language:       OpenCL C
    .language_version:
      - 2
      - 0
    .max_flat_workgroup_size: 1024
    .name:           _Z19threads_copy_kernelIcLi16EEvPKT_PS0_m
    .private_segment_fixed_size: 0
    .sgpr_count:     9
    .sgpr_spill_count: 0
    .symbol:         _Z19threads_copy_kernelIcLi16EEvPKT_PS0_m.kd
    .uniform_work_group_size: 1
    .uses_dynamic_stack: false
    .vgpr_count:     6
    .vgpr_spill_count: 0
    .wavefront_size: 32
amdhsa.target:   amdgcn-amd-amdhsa--gfx1250
amdhsa.version:
  - 1
  - 2
...

	.end_amdgpu_metadata
